;; amdgpu-corpus repo=ROCm/rocFFT kind=compiled arch=gfx906 opt=O3
	.text
	.amdgcn_target "amdgcn-amd-amdhsa--gfx906"
	.amdhsa_code_object_version 6
	.protected	fft_rtc_fwd_len1122_factors_17_11_6_wgs_204_tpt_102_halfLds_half_op_CI_CI_unitstride_sbrr_R2C_dirReg ; -- Begin function fft_rtc_fwd_len1122_factors_17_11_6_wgs_204_tpt_102_halfLds_half_op_CI_CI_unitstride_sbrr_R2C_dirReg
	.globl	fft_rtc_fwd_len1122_factors_17_11_6_wgs_204_tpt_102_halfLds_half_op_CI_CI_unitstride_sbrr_R2C_dirReg
	.p2align	8
	.type	fft_rtc_fwd_len1122_factors_17_11_6_wgs_204_tpt_102_halfLds_half_op_CI_CI_unitstride_sbrr_R2C_dirReg,@function
fft_rtc_fwd_len1122_factors_17_11_6_wgs_204_tpt_102_halfLds_half_op_CI_CI_unitstride_sbrr_R2C_dirReg: ; @fft_rtc_fwd_len1122_factors_17_11_6_wgs_204_tpt_102_halfLds_half_op_CI_CI_unitstride_sbrr_R2C_dirReg
; %bb.0:
	s_load_dwordx4 s[8:11], s[4:5], 0x58
	s_load_dwordx4 s[12:15], s[4:5], 0x0
	;; [unrolled: 1-line block ×3, first 2 shown]
	v_mul_u32_u24_e32 v1, 0x283, v0
	v_lshrrev_b32_e32 v5, 16, v1
	v_mov_b32_e32 v8, 0
	s_waitcnt lgkmcnt(0)
	v_cmp_lt_u64_e64 s[0:1], s[14:15], 2
	v_mov_b32_e32 v6, 0
	v_lshl_add_u32 v10, s6, 1, v5
	v_mov_b32_e32 v11, v8
	s_and_b64 vcc, exec, s[0:1]
	v_mov_b32_e32 v7, 0
	s_cbranch_vccnz .LBB0_8
; %bb.1:
	s_load_dwordx2 s[0:1], s[4:5], 0x10
	s_add_u32 s2, s18, 8
	s_addc_u32 s3, s19, 0
	s_add_u32 s6, s16, 8
	s_addc_u32 s7, s17, 0
	v_mov_b32_e32 v6, 0
	s_waitcnt lgkmcnt(0)
	s_add_u32 s20, s0, 8
	v_mov_b32_e32 v7, 0
	v_mov_b32_e32 v1, v6
	s_addc_u32 s21, s1, 0
	s_mov_b64 s[22:23], 1
	v_mov_b32_e32 v2, v7
.LBB0_2:                                ; =>This Inner Loop Header: Depth=1
	s_load_dwordx2 s[24:25], s[20:21], 0x0
                                        ; implicit-def: $vgpr3_vgpr4
	s_waitcnt lgkmcnt(0)
	v_or_b32_e32 v9, s25, v11
	v_cmp_ne_u64_e32 vcc, 0, v[8:9]
	s_and_saveexec_b64 s[0:1], vcc
	s_xor_b64 s[26:27], exec, s[0:1]
	s_cbranch_execz .LBB0_4
; %bb.3:                                ;   in Loop: Header=BB0_2 Depth=1
	v_cvt_f32_u32_e32 v3, s24
	v_cvt_f32_u32_e32 v4, s25
	s_sub_u32 s0, 0, s24
	s_subb_u32 s1, 0, s25
	v_mac_f32_e32 v3, 0x4f800000, v4
	v_rcp_f32_e32 v3, v3
	v_mul_f32_e32 v3, 0x5f7ffffc, v3
	v_mul_f32_e32 v4, 0x2f800000, v3
	v_trunc_f32_e32 v4, v4
	v_mac_f32_e32 v3, 0xcf800000, v4
	v_cvt_u32_f32_e32 v4, v4
	v_cvt_u32_f32_e32 v3, v3
	v_mul_lo_u32 v9, s0, v4
	v_mul_hi_u32 v12, s0, v3
	v_mul_lo_u32 v14, s1, v3
	v_mul_lo_u32 v13, s0, v3
	v_add_u32_e32 v9, v12, v9
	v_add_u32_e32 v9, v9, v14
	v_mul_hi_u32 v12, v3, v13
	v_mul_lo_u32 v14, v3, v9
	v_mul_hi_u32 v16, v3, v9
	v_mul_hi_u32 v15, v4, v13
	v_mul_lo_u32 v13, v4, v13
	v_mul_hi_u32 v17, v4, v9
	v_add_co_u32_e32 v12, vcc, v12, v14
	v_addc_co_u32_e32 v14, vcc, 0, v16, vcc
	v_mul_lo_u32 v9, v4, v9
	v_add_co_u32_e32 v12, vcc, v12, v13
	v_addc_co_u32_e32 v12, vcc, v14, v15, vcc
	v_addc_co_u32_e32 v13, vcc, 0, v17, vcc
	v_add_co_u32_e32 v9, vcc, v12, v9
	v_addc_co_u32_e32 v12, vcc, 0, v13, vcc
	v_add_co_u32_e32 v3, vcc, v3, v9
	v_addc_co_u32_e32 v4, vcc, v4, v12, vcc
	v_mul_lo_u32 v9, s0, v4
	v_mul_hi_u32 v12, s0, v3
	v_mul_lo_u32 v13, s1, v3
	v_mul_lo_u32 v14, s0, v3
	v_add_u32_e32 v9, v12, v9
	v_add_u32_e32 v9, v9, v13
	v_mul_lo_u32 v15, v3, v9
	v_mul_hi_u32 v16, v3, v14
	v_mul_hi_u32 v17, v3, v9
	;; [unrolled: 1-line block ×3, first 2 shown]
	v_mul_lo_u32 v14, v4, v14
	v_mul_hi_u32 v12, v4, v9
	v_add_co_u32_e32 v15, vcc, v16, v15
	v_addc_co_u32_e32 v16, vcc, 0, v17, vcc
	v_mul_lo_u32 v9, v4, v9
	v_add_co_u32_e32 v14, vcc, v15, v14
	v_addc_co_u32_e32 v13, vcc, v16, v13, vcc
	v_addc_co_u32_e32 v12, vcc, 0, v12, vcc
	v_add_co_u32_e32 v9, vcc, v13, v9
	v_addc_co_u32_e32 v12, vcc, 0, v12, vcc
	v_add_co_u32_e32 v9, vcc, v3, v9
	v_addc_co_u32_e32 v12, vcc, v4, v12, vcc
	v_mad_u64_u32 v[3:4], s[0:1], v10, v12, 0
	v_mul_hi_u32 v13, v10, v9
	v_add_co_u32_e32 v14, vcc, v13, v3
	v_addc_co_u32_e32 v15, vcc, 0, v4, vcc
	v_mad_u64_u32 v[3:4], s[0:1], v11, v9, 0
	v_mad_u64_u32 v[12:13], s[0:1], v11, v12, 0
	v_add_co_u32_e32 v3, vcc, v14, v3
	v_addc_co_u32_e32 v3, vcc, v15, v4, vcc
	v_addc_co_u32_e32 v4, vcc, 0, v13, vcc
	v_add_co_u32_e32 v9, vcc, v3, v12
	v_addc_co_u32_e32 v12, vcc, 0, v4, vcc
	v_mul_lo_u32 v13, s25, v9
	v_mul_lo_u32 v14, s24, v12
	v_mad_u64_u32 v[3:4], s[0:1], s24, v9, 0
	v_add3_u32 v4, v4, v14, v13
	v_sub_u32_e32 v13, v11, v4
	v_mov_b32_e32 v14, s25
	v_sub_co_u32_e32 v3, vcc, v10, v3
	v_subb_co_u32_e64 v13, s[0:1], v13, v14, vcc
	v_subrev_co_u32_e64 v14, s[0:1], s24, v3
	v_subbrev_co_u32_e64 v13, s[0:1], 0, v13, s[0:1]
	v_cmp_le_u32_e64 s[0:1], s25, v13
	v_cndmask_b32_e64 v15, 0, -1, s[0:1]
	v_cmp_le_u32_e64 s[0:1], s24, v14
	v_cndmask_b32_e64 v14, 0, -1, s[0:1]
	v_cmp_eq_u32_e64 s[0:1], s25, v13
	v_cndmask_b32_e64 v13, v15, v14, s[0:1]
	v_add_co_u32_e64 v14, s[0:1], 2, v9
	v_addc_co_u32_e64 v15, s[0:1], 0, v12, s[0:1]
	v_add_co_u32_e64 v16, s[0:1], 1, v9
	v_addc_co_u32_e64 v17, s[0:1], 0, v12, s[0:1]
	v_subb_co_u32_e32 v4, vcc, v11, v4, vcc
	v_cmp_ne_u32_e64 s[0:1], 0, v13
	v_cmp_le_u32_e32 vcc, s25, v4
	v_cndmask_b32_e64 v13, v17, v15, s[0:1]
	v_cndmask_b32_e64 v15, 0, -1, vcc
	v_cmp_le_u32_e32 vcc, s24, v3
	v_cndmask_b32_e64 v3, 0, -1, vcc
	v_cmp_eq_u32_e32 vcc, s25, v4
	v_cndmask_b32_e32 v3, v15, v3, vcc
	v_cmp_ne_u32_e32 vcc, 0, v3
	v_cndmask_b32_e64 v3, v16, v14, s[0:1]
	v_cndmask_b32_e32 v4, v12, v13, vcc
	v_cndmask_b32_e32 v3, v9, v3, vcc
.LBB0_4:                                ;   in Loop: Header=BB0_2 Depth=1
	s_andn2_saveexec_b64 s[0:1], s[26:27]
	s_cbranch_execz .LBB0_6
; %bb.5:                                ;   in Loop: Header=BB0_2 Depth=1
	v_cvt_f32_u32_e32 v3, s24
	s_sub_i32 s26, 0, s24
	v_rcp_iflag_f32_e32 v3, v3
	v_mul_f32_e32 v3, 0x4f7ffffe, v3
	v_cvt_u32_f32_e32 v3, v3
	v_mul_lo_u32 v4, s26, v3
	v_mul_hi_u32 v4, v3, v4
	v_add_u32_e32 v3, v3, v4
	v_mul_hi_u32 v3, v10, v3
	v_mul_lo_u32 v4, v3, s24
	v_add_u32_e32 v9, 1, v3
	v_sub_u32_e32 v4, v10, v4
	v_subrev_u32_e32 v12, s24, v4
	v_cmp_le_u32_e32 vcc, s24, v4
	v_cndmask_b32_e32 v4, v4, v12, vcc
	v_cndmask_b32_e32 v3, v3, v9, vcc
	v_add_u32_e32 v9, 1, v3
	v_cmp_le_u32_e32 vcc, s24, v4
	v_cndmask_b32_e32 v3, v3, v9, vcc
	v_mov_b32_e32 v4, v8
.LBB0_6:                                ;   in Loop: Header=BB0_2 Depth=1
	s_or_b64 exec, exec, s[0:1]
	v_mul_lo_u32 v9, v4, s24
	v_mul_lo_u32 v14, v3, s25
	v_mad_u64_u32 v[12:13], s[0:1], v3, s24, 0
	s_load_dwordx2 s[0:1], s[6:7], 0x0
	s_load_dwordx2 s[24:25], s[2:3], 0x0
	v_add3_u32 v9, v13, v14, v9
	v_sub_co_u32_e32 v10, vcc, v10, v12
	v_subb_co_u32_e32 v9, vcc, v11, v9, vcc
	s_waitcnt lgkmcnt(0)
	v_mul_lo_u32 v11, s0, v9
	v_mul_lo_u32 v12, s1, v10
	v_mad_u64_u32 v[6:7], s[0:1], s0, v10, v[6:7]
	v_mul_lo_u32 v9, s24, v9
	v_mul_lo_u32 v13, s25, v10
	v_mad_u64_u32 v[1:2], s[0:1], s24, v10, v[1:2]
	s_add_u32 s22, s22, 1
	s_addc_u32 s23, s23, 0
	s_add_u32 s2, s2, 8
	v_add3_u32 v2, v13, v2, v9
	s_addc_u32 s3, s3, 0
	v_mov_b32_e32 v9, s14
	s_add_u32 s6, s6, 8
	v_mov_b32_e32 v10, s15
	s_addc_u32 s7, s7, 0
	v_cmp_ge_u64_e32 vcc, s[22:23], v[9:10]
	s_add_u32 s20, s20, 8
	v_add3_u32 v7, v12, v7, v11
	s_addc_u32 s21, s21, 0
	s_cbranch_vccnz .LBB0_9
; %bb.7:                                ;   in Loop: Header=BB0_2 Depth=1
	v_mov_b32_e32 v11, v4
	v_mov_b32_e32 v10, v3
	s_branch .LBB0_2
.LBB0_8:
	v_mov_b32_e32 v1, v6
	v_mov_b32_e32 v3, v10
	;; [unrolled: 1-line block ×4, first 2 shown]
.LBB0_9:
	s_load_dwordx2 s[2:3], s[4:5], 0x28
	s_lshl_b64 s[6:7], s[14:15], 3
	s_add_u32 s4, s18, s6
	v_and_b32_e32 v5, 1, v5
	s_addc_u32 s5, s19, s7
	s_waitcnt lgkmcnt(0)
	v_cmp_gt_u64_e32 vcc, s[2:3], v[3:4]
	v_cmp_le_u64_e64 s[2:3], s[2:3], v[3:4]
	v_cmp_eq_u32_e64 s[0:1], 1, v5
	v_mov_b32_e32 v8, 0x463
                                        ; implicit-def: $vgpr5
	s_and_saveexec_b64 s[14:15], s[2:3]
	s_xor_b64 s[2:3], exec, s[14:15]
; %bb.10:
	s_mov_b32 s14, 0x2828283
	v_mul_hi_u32 v5, v0, s14
                                        ; implicit-def: $vgpr6_vgpr7
	v_mul_u32_u24_e32 v5, 0x66, v5
	v_sub_u32_e32 v5, v0, v5
                                        ; implicit-def: $vgpr0
; %bb.11:
	s_or_saveexec_b64 s[2:3], s[2:3]
	v_cndmask_b32_e64 v8, 0, v8, s[0:1]
	v_lshlrev_b32_e32 v28, 2, v8
	s_xor_b64 exec, exec, s[2:3]
	s_cbranch_execz .LBB0_13
; %bb.12:
	s_add_u32 s0, s16, s6
	s_addc_u32 s1, s17, s7
	s_load_dwordx2 s[0:1], s[0:1], 0x0
	s_mov_b32 s6, 0x2828283
	v_mul_hi_u32 v5, v0, s6
	v_lshlrev_b64 v[6:7], 2, v[6:7]
	s_waitcnt lgkmcnt(0)
	v_mul_lo_u32 v10, s1, v3
	v_mul_lo_u32 v11, s0, v4
	v_mad_u64_u32 v[8:9], s[0:1], s0, v3, 0
	v_mul_u32_u24_e32 v5, 0x66, v5
	v_sub_u32_e32 v5, v0, v5
	v_add3_u32 v9, v9, v11, v10
	v_lshlrev_b64 v[8:9], 2, v[8:9]
	v_mov_b32_e32 v0, s9
	v_add_co_u32_e64 v8, s[0:1], s8, v8
	v_addc_co_u32_e64 v0, s[0:1], v0, v9, s[0:1]
	v_add_co_u32_e64 v6, s[0:1], v8, v6
	v_addc_co_u32_e64 v0, s[0:1], v0, v7, s[0:1]
	v_lshlrev_b32_e32 v8, 2, v5
	v_add_co_u32_e64 v6, s[0:1], v6, v8
	v_addc_co_u32_e64 v7, s[0:1], 0, v0, s[0:1]
	global_load_dword v0, v[6:7], off
	global_load_dword v9, v[6:7], off offset:408
	global_load_dword v10, v[6:7], off offset:816
	global_load_dword v11, v[6:7], off offset:1224
	global_load_dword v12, v[6:7], off offset:1632
	global_load_dword v13, v[6:7], off offset:2040
	global_load_dword v14, v[6:7], off offset:2448
	global_load_dword v15, v[6:7], off offset:2856
	global_load_dword v16, v[6:7], off offset:3264
	global_load_dword v17, v[6:7], off offset:3672
	global_load_dword v18, v[6:7], off offset:4080
	v_add3_u32 v6, 0, v28, v8
	v_add_u32_e32 v7, 0x200, v6
	v_add_u32_e32 v8, 0x400, v6
	;; [unrolled: 1-line block ×4, first 2 shown]
	s_waitcnt vmcnt(9)
	ds_write2_b32 v6, v0, v9 offset1:102
	s_waitcnt vmcnt(7)
	ds_write2_b32 v7, v10, v11 offset0:76 offset1:178
	s_waitcnt vmcnt(5)
	ds_write2_b32 v8, v12, v13 offset0:152 offset1:254
	;; [unrolled: 2-line block ×4, first 2 shown]
	s_waitcnt vmcnt(0)
	ds_write_b32 v6, v18 offset:4080
.LBB0_13:
	s_or_b64 exec, exec, s[2:3]
	v_lshlrev_b32_e32 v25, 2, v5
	v_add_u32_e32 v41, 0, v25
	v_add_u32_e32 v26, v41, v28
	;; [unrolled: 1-line block ×3, first 2 shown]
	s_waitcnt lgkmcnt(0)
	s_barrier
	ds_read2_b32 v[20:21], v26 offset0:66 offset1:132
	ds_read2_b32 v[8:9], v0 offset0:94 offset1:160
	v_add_u32_e32 v6, 0xc00, v26
	v_add_u32_e32 v29, 0x200, v26
	ds_read2_b32 v[10:11], v6 offset0:90 offset1:156
	ds_read2_b32 v[22:23], v29 offset0:70 offset1:136
	v_add_u32_e32 v31, 0xa00, v26
	v_add_u32_e32 v32, 0x400, v26
	ds_read2_b32 v[12:13], v31 offset0:86 offset1:152
	ds_read2_b32 v[14:15], v32 offset0:74 offset1:140
	s_waitcnt lgkmcnt(4)
	v_pk_add_f16 v34, v20, v9 neg_lo:[0,1] neg_hi:[0,1]
	s_mov_b32 s6, 0xba62
	v_pk_add_f16 v37, v9, v20
	v_pk_add_f16 v35, v21, v8 neg_lo:[0,1] neg_hi:[0,1]
	v_pk_mul_f16 v0, v34, s6 op_sel_hi:[1,0]
	s_mov_b32 s8, 0xb8d2
	s_movk_i32 s25, 0x3bb2
	v_pk_add_f16 v36, v8, v21
	v_pk_fma_f16 v54, v37, s8, v0 op_sel:[0,0,1] op_sel_hi:[1,0,0]
	v_pk_fma_f16 v55, v37, s8, v0 op_sel:[0,0,1] op_sel_hi:[1,0,0] neg_lo:[0,0,1] neg_hi:[0,0,1]
	v_pk_mul_f16 v0, v35, s25 op_sel_hi:[1,0]
	s_mov_b32 s7, 0xb461
	s_mov_b32 s24, 0xb5c8
	s_waitcnt lgkmcnt(2)
	v_pk_add_f16 v38, v22, v11 neg_lo:[0,1] neg_hi:[0,1]
	v_pk_fma_f16 v56, v36, s7, v0 op_sel:[0,0,1] op_sel_hi:[1,0,0]
	v_pk_fma_f16 v57, v36, s7, v0 op_sel:[0,0,1] op_sel_hi:[1,0,0] neg_lo:[0,0,1] neg_hi:[0,0,1]
	s_movk_i32 s15, 0x3b76
	v_pk_add_f16 v42, v11, v22
	v_pk_mul_f16 v0, v38, s24 op_sel_hi:[1,0]
	s_mov_b32 s9, 0xb836
	v_pk_add_f16 v39, v23, v10 neg_lo:[0,1] neg_hi:[0,1]
	v_pk_fma_f16 v58, v42, s15, v0 op_sel:[0,0,1] op_sel_hi:[1,0,0]
	v_pk_fma_f16 v59, v42, s15, v0 op_sel:[0,0,1] op_sel_hi:[1,0,0] neg_lo:[0,0,1] neg_hi:[0,0,1]
	s_mov_b32 s16, 0xbacd
	v_pk_add_f16 v43, v10, v23
	v_pk_mul_f16 v0, v39, s9 op_sel_hi:[1,0]
	s_movk_i32 s14, 0x3bf7
	s_waitcnt lgkmcnt(0)
	v_pk_add_f16 v40, v14, v13 neg_lo:[0,1] neg_hi:[0,1]
	v_pk_fma_f16 v60, v43, s16, v0 op_sel:[0,0,1] op_sel_hi:[1,0,0]
	v_pk_fma_f16 v61, v43, s16, v0 op_sel:[0,0,1] op_sel_hi:[1,0,0] neg_lo:[0,0,1] neg_hi:[0,0,1]
	s_movk_i32 s17, 0x2de8
	v_pk_add_f16 v45, v13, v14
	v_pk_mul_f16 v0, v40, s14 op_sel_hi:[1,0]
	s_mov_b32 s26, 0xb964
	v_pk_add_f16 v44, v15, v12 neg_lo:[0,1] neg_hi:[0,1]
	v_pk_fma_f16 v86, v45, s17, v0 op_sel:[0,0,1] op_sel_hi:[1,0,0]
	v_pk_fma_f16 v87, v45, s17, v0 op_sel:[0,0,1] op_sel_hi:[1,0,0] neg_lo:[0,0,1] neg_hi:[0,0,1]
	s_movk_i32 s18, 0x39e9
	v_pk_add_f16 v47, v12, v15
	v_pk_mul_f16 v0, v44, s26 op_sel_hi:[1,0]
	v_add_u32_e32 v33, 0x600, v26
	v_add_u32_e32 v30, 0x800, v26
	ds_read2_b32 v[18:19], v33 offset0:78 offset1:144
	ds_read2_b32 v[16:17], v30 offset0:82 offset1:148
	v_pk_fma_f16 v88, v47, s18, v0 op_sel:[0,0,1] op_sel_hi:[1,0,0]
	v_pk_fma_f16 v89, v47, s18, v0 op_sel:[0,0,1] op_sel_hi:[1,0,0] neg_lo:[0,0,1] neg_hi:[0,0,1]
	v_add_u32_e32 v0, 0, v28
	v_add_u32_e32 v24, v0, v25
	ds_read_b32 v51, v24
	s_mov_b32 s19, 0xb1e1
	s_waitcnt lgkmcnt(1)
	v_pk_add_f16 v46, v18, v17 neg_lo:[0,1] neg_hi:[0,1]
	s_movk_i32 s20, 0x3b29
	v_pk_add_f16 v49, v19, v16 neg_lo:[0,1] neg_hi:[0,1]
	s_mov_b32 s21, 0xbbdd
	v_pk_add_f16 v48, v17, v18
	v_pk_mul_f16 v7, v46, s19 op_sel_hi:[1,0]
	s_movk_i32 s22, 0x3722
	v_pk_add_f16 v50, v16, v19
	v_pk_mul_f16 v27, v49, s20 op_sel_hi:[1,0]
	v_pk_fma_f16 v90, v48, s21, v7 op_sel:[0,0,1] op_sel_hi:[1,0,0]
	v_pk_fma_f16 v91, v48, s21, v7 op_sel:[0,0,1] op_sel_hi:[1,0,0] neg_lo:[0,0,1] neg_hi:[0,0,1]
	s_waitcnt lgkmcnt(0)
	v_add_f16_e32 v7, v51, v54
	v_pk_fma_f16 v92, v50, s22, v27 op_sel:[0,0,1] op_sel_hi:[1,0,0]
	v_pk_fma_f16 v93, v50, s22, v27 op_sel:[0,0,1] op_sel_hi:[1,0,0] neg_lo:[0,0,1] neg_hi:[0,0,1]
	v_add_f16_sdwa v27, v51, v55 dst_sel:DWORD dst_unused:UNUSED_PAD src0_sel:WORD_1 src1_sel:WORD_1
	v_add_f16_e32 v7, v56, v7
	v_add_f16_sdwa v27, v57, v27 dst_sel:DWORD dst_unused:UNUSED_PAD src0_sel:WORD_1 src1_sel:DWORD
	v_add_f16_e32 v7, v58, v7
	v_add_f16_sdwa v27, v59, v27 dst_sel:DWORD dst_unused:UNUSED_PAD src0_sel:WORD_1 src1_sel:DWORD
	;; [unrolled: 2-line block ×6, first 2 shown]
	s_movk_i32 s0, 0x42
	v_add_f16_sdwa v27, v93, v27 dst_sel:DWORD dst_unused:UNUSED_PAD src0_sel:WORD_1 src1_sel:DWORD
	v_cmp_gt_u32_e64 s[0:1], s0, v5
	v_add_f16_e32 v7, v92, v7
	s_barrier
	s_and_saveexec_b64 s[2:3], s[0:1]
	s_cbranch_execz .LBB0_15
; %bb.14:
	v_mul_f16_e32 v70, 0xb836, v34
	v_lshrrev_b32_e32 v65, 16, v37
	v_fma_f16 v52, v65, s16, v70
	v_mul_f16_e32 v71, 0x3b29, v35
	v_lshrrev_b32_e32 v67, 16, v36
	s_mov_b32 s0, 0xffff
	v_add_f16_sdwa v52, v51, v52 dst_sel:DWORD dst_unused:UNUSED_PAD src0_sel:WORD_1 src1_sel:DWORD
	v_fma_f16 v53, v67, s22, v71
	v_mul_f16_e32 v72, 0xbbf7, v38
	v_lshrrev_b32_e32 v68, 16, v42
	v_bfi_b32 v54, s0, v55, v54
	v_bfi_b32 v55, s0, v57, v56
	;; [unrolled: 1-line block ×4, first 2 shown]
	v_mul_f16_e32 v86, 0xbbb2, v34
	v_add_f16_e32 v52, v53, v52
	v_fma_f16 v53, v68, s17, v72
	v_mul_f16_e32 v73, 0x3a62, v39
	v_lshrrev_b32_e32 v69, 16, v43
	v_fma_f16 v87, v65, s7, v86
	v_add_f16_e32 v52, v53, v52
	v_fma_f16 v53, v69, s8, v73
	v_mul_f16_e32 v74, 0xb5c8, v40
	v_lshrrev_b32_e32 v66, 16, v45
	v_bfi_b32 v59, s0, v89, v88
	v_add_f16_sdwa v88, v51, v87 dst_sel:DWORD dst_unused:UNUSED_PAD src0_sel:WORD_1 src1_sel:DWORD
	v_mul_f16_e32 v87, 0x3836, v35
	v_add_f16_e32 v52, v53, v52
	v_fma_f16 v53, v66, s15, v74
	v_mul_f16_e32 v75, 0xb1e1, v44
	v_lshrrev_b32_e32 v64, 16, v47
	v_fma_f16 v89, v67, s16, v87
	v_add_f16_e32 v52, v53, v52
	v_fma_f16 v53, v64, s21, v75
	v_mul_f16_e32 v76, 0x3964, v46
	v_lshrrev_b32_e32 v63, 16, v48
	v_add_f16_e32 v89, v89, v88
	v_mul_f16_e32 v88, 0x3964, v38
	v_add_f16_e32 v52, v53, v52
	v_fma_f16 v53, v63, s18, v76
	v_mul_f16_e32 v77, 0xbbb2, v49
	v_lshrrev_b32_e32 v62, 16, v50
	v_bfi_b32 v57, s0, v61, v60
	v_bfi_b32 v60, s0, v91, v90
	v_fma_f16 v90, v68, s18, v88
	v_pk_add_f16 v20, v51, v20
	v_add_f16_e32 v52, v53, v52
	v_fma_f16 v53, v62, s7, v77
	v_mul_f16_sdwa v78, v34, s9 dst_sel:DWORD dst_unused:UNUSED_PAD src0_sel:WORD_1 src1_sel:DWORD
	v_add_f16_e32 v90, v90, v89
	v_mul_f16_e32 v89, 0xbb29, v39
	v_pk_add_f16 v20, v20, v21
	v_add_f16_e32 v52, v53, v52
	v_fma_f16 v53, v37, s16, -v78
	v_mul_f16_sdwa v79, v35, s20 dst_sel:DWORD dst_unused:UNUSED_PAD src0_sel:WORD_1 src1_sel:DWORD
	v_fma_f16 v91, v69, s22, v89
	v_mul_f16_e32 v21, 0xb1e1, v40
	v_pk_add_f16 v20, v20, v22
	s_mov_b32 s27, 0xbbf7
	v_add_f16_e32 v53, v51, v53
	v_fma_f16 v80, v36, s22, -v79
	v_add_f16_e32 v90, v91, v90
	v_fma_f16 v91, v66, s21, v21
	v_pk_add_f16 v22, v20, v23
	v_add_f16_e32 v53, v80, v53
	v_mul_f16_sdwa v80, v38, s27 dst_sel:DWORD dst_unused:UNUSED_PAD src0_sel:WORD_1 src1_sel:DWORD
	s_mov_b32 s1, 0xbbb2
	v_add_f16_e32 v90, v91, v90
	v_mul_f16_e32 v91, 0x3bf7, v44
	v_pk_add_f16 v14, v22, v14
	s_movk_i32 s28, 0x3a62
	v_fma_f16 v81, v42, s17, -v80
	v_bfi_b32 v61, s0, v93, v92
	v_fma_f16 v92, v64, s17, v91
	v_mul_f16_e32 v23, 0xb5c8, v46
	s_movk_i32 s29, 0x3836
	v_pk_add_f16 v14, v14, v15
	v_mul_f16_sdwa v15, v34, s1 dst_sel:DWORD dst_unused:UNUSED_PAD src0_sel:WORD_1 src1_sel:DWORD
	v_add_f16_e32 v53, v81, v53
	v_mul_f16_sdwa v81, v39, s28 dst_sel:DWORD dst_unused:UNUSED_PAD src0_sel:WORD_1 src1_sel:DWORD
	v_add_f16_e32 v90, v92, v90
	v_fma_f16 v20, v63, s15, v23
	v_fma_f16 v22, v37, s7, -v15
	v_pk_add_f16 v14, v14, v18
	v_mul_f16_sdwa v18, v35, s29 dst_sel:DWORD dst_unused:UNUSED_PAD src0_sel:WORD_1 src1_sel:DWORD
	v_fma_f16 v82, v43, s8, -v81
	s_movk_i32 s23, 0x3964
	v_add_f16_e32 v20, v20, v90
	v_mul_f16_e32 v90, 0xba62, v49
	v_add_f16_e32 v22, v51, v22
	v_pk_add_f16 v14, v14, v19
	v_fma_f16 v19, v36, s16, -v18
	v_add_f16_e32 v53, v82, v53
	v_mul_f16_sdwa v82, v40, s24 dst_sel:DWORD dst_unused:UNUSED_PAD src0_sel:WORD_1 src1_sel:DWORD
	v_fma_f16 v92, v62, s8, v90
	v_add_f16_e32 v19, v19, v22
	v_mul_f16_sdwa v22, v38, s23 dst_sel:DWORD dst_unused:UNUSED_PAD src0_sel:WORD_1 src1_sel:DWORD
	s_mov_b32 s30, 0xbb29
	v_fma_f16 v83, v45, s15, -v82
	v_add_f16_e32 v20, v92, v20
	v_fma_f16 v92, v42, s18, -v22
	v_pk_add_f16 v14, v14, v16
	v_mul_f16_sdwa v16, v39, s30 dst_sel:DWORD dst_unused:UNUSED_PAD src0_sel:WORD_1 src1_sel:DWORD
	v_add_f16_e32 v53, v83, v53
	v_mul_f16_sdwa v83, v44, s19 dst_sel:DWORD dst_unused:UNUSED_PAD src0_sel:WORD_1 src1_sel:DWORD
	v_add_f16_e32 v19, v92, v19
	v_pk_add_f16 v14, v14, v17
	v_fma_f16 v17, v43, s22, -v16
	v_fma_f16 v84, v47, s21, -v83
	v_add_f16_e32 v17, v17, v19
	v_mul_f16_sdwa v19, v40, s19 dst_sel:DWORD dst_unused:UNUSED_PAD src0_sel:WORD_1 src1_sel:DWORD
	v_add_f16_e32 v53, v84, v53
	v_mul_f16_sdwa v84, v46, s23 dst_sel:DWORD dst_unused:UNUSED_PAD src0_sel:WORD_1 src1_sel:DWORD
	v_fma_f16 v92, v45, s21, -v19
	v_fma_f16 v85, v48, s18, -v84
	v_add_f16_e32 v17, v92, v17
	v_mul_f16_sdwa v92, v44, s14 dst_sel:DWORD dst_unused:UNUSED_PAD src0_sel:WORD_1 src1_sel:DWORD
	v_add_f16_e32 v53, v85, v53
	v_mul_f16_sdwa v85, v49, s1 dst_sel:DWORD dst_unused:UNUSED_PAD src0_sel:WORD_1 src1_sel:DWORD
	v_fma_f16 v93, v47, s17, -v92
	v_fma_f16 v94, v50, s7, -v85
	v_add_f16_e32 v17, v93, v17
	v_mul_f16_sdwa v93, v46, s24 dst_sel:DWORD dst_unused:UNUSED_PAD src0_sel:WORD_1 src1_sel:DWORD
	v_add_f16_e32 v53, v94, v53
	v_fma_f16 v94, v48, s15, -v93
	v_add_f16_e32 v17, v94, v17
	v_mul_f16_sdwa v94, v49, s6 dst_sel:DWORD dst_unused:UNUSED_PAD src0_sel:WORD_1 src1_sel:DWORD
	v_fma_f16 v95, v50, s8, -v94
	v_add_f16_e32 v17, v95, v17
	v_mul_f16_e32 v95, 0xbbf7, v34
	v_fma_f16 v96, v65, s17, v95
	v_mul_f16_e32 v97, 0xb1e1, v35
	v_add_f16_sdwa v96, v51, v96 dst_sel:DWORD dst_unused:UNUSED_PAD src0_sel:WORD_1 src1_sel:DWORD
	v_fma_f16 v98, v67, s21, v97
	v_add_f16_e32 v96, v98, v96
	v_mul_f16_e32 v98, 0x3bb2, v38
	v_fma_f16 v99, v68, s7, v98
	v_add_f16_e32 v96, v99, v96
	v_mul_f16_e32 v99, 0x35c8, v39
	;; [unrolled: 3-line block ×6, first 2 shown]
	v_fma_f16 v104, v62, s18, v103
	v_add_f16_e32 v96, v104, v96
	v_mul_f16_sdwa v104, v34, s27 dst_sel:DWORD dst_unused:UNUSED_PAD src0_sel:WORD_1 src1_sel:DWORD
	v_fma_f16 v105, v37, s17, -v104
	v_mul_f16_sdwa v106, v35, s19 dst_sel:DWORD dst_unused:UNUSED_PAD src0_sel:WORD_1 src1_sel:DWORD
	v_add_f16_e32 v105, v51, v105
	v_fma_f16 v107, v36, s21, -v106
	v_add_f16_e32 v105, v107, v105
	v_mul_f16_sdwa v107, v38, s25 dst_sel:DWORD dst_unused:UNUSED_PAD src0_sel:WORD_1 src1_sel:DWORD
	v_fma_f16 v108, v42, s7, -v107
	s_movk_i32 s29, 0x35c8
	v_add_f16_e32 v105, v108, v105
	v_mul_f16_sdwa v108, v39, s29 dst_sel:DWORD dst_unused:UNUSED_PAD src0_sel:WORD_1 src1_sel:DWORD
	v_fma_f16 v109, v43, s15, -v108
	v_add_f16_e32 v105, v109, v105
	v_mul_f16_sdwa v109, v40, s30 dst_sel:DWORD dst_unused:UNUSED_PAD src0_sel:WORD_1 src1_sel:DWORD
	v_fma_f16 v110, v45, s22, -v109
	;; [unrolled: 3-line block ×5, first 2 shown]
	v_add_f16_e32 v105, v113, v105
	v_mul_f16_e32 v113, 0xbb29, v34
	v_fma_f16 v114, v65, s22, v113
	v_mul_f16_e32 v115, 0xba62, v35
	v_add_f16_sdwa v114, v51, v114 dst_sel:DWORD dst_unused:UNUSED_PAD src0_sel:WORD_1 src1_sel:DWORD
	v_fma_f16 v116, v67, s8, v115
	v_add_f16_e32 v114, v116, v114
	v_mul_f16_e32 v116, 0x31e1, v38
	v_fma_f16 v117, v68, s21, v116
	v_fma_f16 v15, v37, s7, v15
	v_add_f16_e32 v114, v117, v114
	v_mul_f16_e32 v117, 0x3bb2, v39
	v_add_f16_e32 v15, v51, v15
	v_fma_f16 v18, v36, s16, v18
	v_fma_f16 v118, v69, s7, v117
	v_add_f16_e32 v15, v18, v15
	v_fma_f16 v18, v42, s18, v22
	v_add_f16_e32 v114, v118, v114
	v_mul_f16_e32 v118, 0x3964, v40
	v_add_f16_e32 v15, v18, v15
	v_fma_f16 v16, v43, s22, v16
	v_fma_f16 v119, v66, s18, v118
	v_add_f16_e32 v15, v16, v15
	;; [unrolled: 7-line block ×3, first 2 shown]
	v_fma_f16 v16, v48, s15, v93
	v_add_f16_e32 v114, v120, v114
	v_mul_f16_e32 v120, 0xbbf7, v46
	v_fma_f16 v70, v65, s16, -v70
	v_add_f16_e32 v15, v16, v15
	v_fma_f16 v16, v50, s8, v94
	v_fma_f16 v121, v63, s17, v120
	v_add_f16_sdwa v70, v51, v70 dst_sel:DWORD dst_unused:UNUSED_PAD src0_sel:WORD_1 src1_sel:DWORD
	v_fma_f16 v71, v67, s22, -v71
	v_add_f16_e32 v15, v16, v15
	v_fma_f16 v16, v65, s17, -v95
	v_add_f16_e32 v114, v121, v114
	v_mul_f16_e32 v121, 0xbacd, v62
	v_add_f16_e32 v70, v71, v70
	v_fma_f16 v71, v68, s17, -v72
	v_add_f16_sdwa v16, v51, v16 dst_sel:DWORD dst_unused:UNUSED_PAD src0_sel:WORD_1 src1_sel:DWORD
	v_fma_f16 v18, v67, s21, -v97
	v_fma_f16 v122, v49, s9, v121
	v_add_f16_e32 v70, v71, v70
	v_fma_f16 v71, v69, s8, -v73
	v_add_f16_e32 v16, v18, v16
	v_fma_f16 v18, v68, s7, -v98
	v_add_f16_e32 v114, v122, v114
	v_mul_f16_sdwa v122, v34, s30 dst_sel:DWORD dst_unused:UNUSED_PAD src0_sel:WORD_1 src1_sel:DWORD
	v_add_f16_e32 v70, v71, v70
	v_fma_f16 v71, v66, s15, -v74
	v_add_f16_e32 v16, v18, v16
	v_fma_f16 v18, v69, s15, -v99
	v_fma_f16 v123, v37, s22, -v122
	v_mul_f16_sdwa v124, v35, s6 dst_sel:DWORD dst_unused:UNUSED_PAD src0_sel:WORD_1 src1_sel:DWORD
	v_add_f16_e32 v70, v71, v70
	v_fma_f16 v71, v64, s21, -v75
	v_add_f16_e32 v16, v18, v16
	v_fma_f16 v18, v66, s22, -v100
	;; [unrolled: 2-line block ×3, first 2 shown]
	s_movk_i32 s28, 0x31e1
	v_add_f16_e32 v70, v71, v70
	v_fma_f16 v71, v63, s18, -v76
	v_add_f16_e32 v16, v18, v16
	v_fma_f16 v18, v64, s16, -v101
	v_add_f16_e32 v123, v125, v123
	v_mul_f16_sdwa v125, v38, s28 dst_sel:DWORD dst_unused:UNUSED_PAD src0_sel:WORD_1 src1_sel:DWORD
	v_add_f16_e32 v70, v71, v70
	v_fma_f16 v71, v62, s7, -v77
	v_add_f16_e32 v16, v18, v16
	v_fma_f16 v18, v63, s8, -v102
	v_fma_f16 v126, v42, s21, -v125
	v_add_f16_e32 v70, v71, v70
	v_fma_f16 v71, v37, s16, v78
	v_add_f16_e32 v16, v18, v16
	v_fma_f16 v18, v62, s18, -v103
	v_add_f16_e32 v123, v126, v123
	v_mul_f16_sdwa v126, v39, s25 dst_sel:DWORD dst_unused:UNUSED_PAD src0_sel:WORD_1 src1_sel:DWORD
	v_add_f16_e32 v71, v51, v71
	v_fma_f16 v72, v36, s22, v79
	v_add_f16_e32 v16, v18, v16
	v_fma_f16 v18, v37, s17, v104
	v_fma_f16 v127, v43, s7, -v126
	v_add_f16_e32 v71, v72, v71
	v_fma_f16 v72, v42, s17, v80
	v_add_f16_e32 v18, v51, v18
	v_fma_f16 v19, v36, s21, v106
	v_add_f16_e32 v123, v127, v123
	v_mul_f16_sdwa v127, v40, s23 dst_sel:DWORD dst_unused:UNUSED_PAD src0_sel:WORD_1 src1_sel:DWORD
	v_add_f16_e32 v71, v72, v71
	v_fma_f16 v72, v43, s8, v81
	v_add_f16_e32 v18, v19, v18
	v_fma_f16 v19, v42, s7, v107
	v_fma_f16 v128, v45, s18, -v127
	v_add_f16_e32 v71, v72, v71
	v_fma_f16 v72, v45, s15, v82
	v_add_f16_e32 v18, v19, v18
	v_fma_f16 v19, v43, s15, v108
	v_add_f16_e32 v123, v128, v123
	v_mul_f16_sdwa v128, v44, s24 dst_sel:DWORD dst_unused:UNUSED_PAD src0_sel:WORD_1 src1_sel:DWORD
	v_add_f16_e32 v71, v72, v71
	v_fma_f16 v72, v47, s21, v83
	v_add_f16_e32 v18, v19, v18
	v_fma_f16 v19, v45, s22, v109
	v_fma_f16 v129, v47, s15, -v128
	v_add_f16_e32 v71, v72, v71
	v_fma_f16 v72, v48, s18, v84
	v_add_f16_e32 v18, v19, v18
	v_fma_f16 v19, v47, s16, v110
	v_add_f16_e32 v123, v129, v123
	v_mul_f16_sdwa v129, v46, s27 dst_sel:DWORD dst_unused:UNUSED_PAD src0_sel:WORD_1 src1_sel:DWORD
	v_add_f16_e32 v71, v72, v71
	v_fma_f16 v72, v50, s7, v85
	v_add_f16_e32 v18, v19, v18
	v_fma_f16 v19, v48, s8, v111
	v_fma_f16 v130, v48, s17, -v129
	v_add_f16_e32 v71, v72, v71
	v_fma_f16 v72, v65, s7, -v86
	v_add_f16_e32 v18, v19, v18
	v_fma_f16 v19, v50, s18, v112
	v_add_f16_e32 v123, v130, v123
	v_mul_f16_sdwa v130, v49, s9 dst_sel:DWORD dst_unused:UNUSED_PAD src0_sel:WORD_1 src1_sel:DWORD
	v_add_f16_sdwa v72, v51, v72 dst_sel:DWORD dst_unused:UNUSED_PAD src0_sel:WORD_1 src1_sel:DWORD
	v_fma_f16 v73, v67, s16, -v87
	v_add_f16_e32 v18, v19, v18
	v_fma_f16 v19, v65, s22, -v113
	v_fma_f16 v131, v50, s16, -v130
	v_add_f16_e32 v72, v73, v72
	v_fma_f16 v73, v68, s18, -v88
	v_add_f16_sdwa v19, v51, v19 dst_sel:DWORD dst_unused:UNUSED_PAD src0_sel:WORD_1 src1_sel:DWORD
	v_fma_f16 v22, v67, s8, -v115
	v_add_f16_e32 v123, v131, v123
	v_mul_f16_e32 v131, 0xb964, v34
	v_add_f16_e32 v72, v73, v72
	v_fma_f16 v73, v69, s22, -v89
	v_add_f16_e32 v19, v22, v19
	v_fma_f16 v22, v68, s21, -v116
	v_fma_f16 v132, v65, s18, v131
	v_mul_f16_e32 v133, 0xbbf7, v35
	v_add_f16_e32 v72, v73, v72
	v_fma_f16 v21, v66, s21, -v21
	v_add_f16_e32 v19, v22, v19
	v_fma_f16 v22, v69, s7, -v117
	v_add_f16_sdwa v132, v51, v132 dst_sel:DWORD dst_unused:UNUSED_PAD src0_sel:WORD_1 src1_sel:DWORD
	v_fma_f16 v134, v67, s17, v133
	v_add_f16_e32 v21, v21, v72
	v_fma_f16 v72, v64, s17, -v91
	v_add_f16_e32 v19, v22, v19
	v_fma_f16 v22, v66, s18, -v118
	v_add_f16_e32 v132, v134, v132
	v_mul_f16_e32 v134, 0xba62, v38
	v_add_f16_e32 v21, v72, v21
	v_fma_f16 v23, v63, s15, -v23
	v_add_f16_e32 v19, v22, v19
	v_fma_f16 v22, v64, s15, -v119
	v_fma_f16 v135, v68, s8, v134
	v_add_f16_e32 v21, v23, v21
	v_fma_f16 v23, v62, s8, -v90
	v_add_f16_e32 v19, v22, v19
	v_fma_f16 v22, v37, s22, v122
	v_add_f16_e32 v132, v135, v132
	v_mul_f16_e32 v135, 0xb1e1, v39
	v_add_f16_e32 v21, v23, v21
	v_add_f16_e32 v22, v51, v22
	v_fma_f16 v23, v36, s8, v124
	v_fma_f16 v136, v69, s21, v135
	v_add_f16_e32 v22, v23, v22
	v_fma_f16 v23, v42, s21, v125
	v_add_f16_e32 v132, v136, v132
	v_mul_f16_e32 v136, 0x3836, v40
	v_add_f16_e32 v22, v23, v22
	v_fma_f16 v23, v43, s7, v126
	v_fma_f16 v137, v66, s16, v136
	v_add_f16_e32 v22, v23, v22
	v_fma_f16 v23, v45, s18, v127
	v_add_f16_e32 v132, v137, v132
	v_mul_f16_e32 v137, 0x3bb2, v44
	;; [unrolled: 7-line block ×3, first 2 shown]
	v_add_f16_e32 v22, v23, v22
	v_fma_f16 v23, v50, s16, v130
	v_fma_f16 v139, v63, s22, v138
	v_add_f16_e32 v22, v23, v22
	v_fma_f16 v23, v65, s18, -v131
	v_add_f16_e32 v132, v139, v132
	v_mul_f16_e32 v139, 0x35c8, v49
	v_fma_f16 v65, v67, s17, -v133
	v_add_f16_sdwa v23, v51, v23 dst_sel:DWORD dst_unused:UNUSED_PAD src0_sel:WORD_1 src1_sel:DWORD
	v_fma_f16 v140, v62, s15, v139
	v_add_f16_e32 v23, v65, v23
	v_fma_f16 v65, v68, s8, -v134
	v_add_f16_e32 v132, v140, v132
	v_mul_f16_sdwa v140, v34, s24 dst_sel:DWORD dst_unused:UNUSED_PAD src0_sel:WORD_1 src1_sel:DWORD
	v_add_f16_e32 v23, v65, v23
	v_fma_f16 v68, v69, s21, -v135
	v_fma_f16 v141, v37, s15, -v140
	v_mul_f16_sdwa v142, v35, s26 dst_sel:DWORD dst_unused:UNUSED_PAD src0_sel:WORD_1 src1_sel:DWORD
	v_add_f16_e32 v23, v68, v23
	v_fma_f16 v66, v66, s16, -v136
	v_pk_add_f16 v12, v14, v12
	v_add_f16_e32 v141, v51, v141
	v_fma_f16 v143, v36, s18, -v142
	v_add_f16_e32 v23, v66, v23
	v_fma_f16 v64, v64, s7, -v137
	v_pk_add_f16 v12, v12, v13
	v_add_f16_e32 v141, v143, v141
	v_mul_f16_sdwa v143, v38, s30 dst_sel:DWORD dst_unused:UNUSED_PAD src0_sel:WORD_1 src1_sel:DWORD
	s_mov_b32 s24, 0x3b7639e9
	v_add_f16_e32 v23, v64, v23
	v_fma_f16 v74, v63, s17, -v120
	v_fma_f16 v63, v63, s22, -v138
	v_pk_add_f16 v10, v12, v10
	v_fma_f16 v144, v42, s22, -v143
	v_pk_mul_f16 v69, v37, s24
	s_mov_b32 s24, 0xb964b5c8
	s_mov_b32 s25, 0x39e92de8
	v_add_f16_e32 v23, v63, v23
	v_fma_f16 v62, v62, s15, -v139
	v_pk_add_f16 v10, v10, v11
	v_add_f16_e32 v141, v144, v141
	v_mul_f16_sdwa v144, v39, s27 dst_sel:DWORD dst_unused:UNUSED_PAD src0_sel:WORD_1 src1_sel:DWORD
	v_pk_mul_f16 v68, v36, s25
	s_mov_b32 s25, 0xbbf7b964
	s_mov_b32 s26, 0x3722b8d2
	v_add_f16_e32 v23, v62, v23
	v_pk_fma_f16 v62, v34, s24, v69 op_sel:[0,0,1] op_sel_hi:[1,1,0]
	v_fma_f16 v77, v37, s15, v140
	v_pk_fma_f16 v69, v34, s24, v69 op_sel:[0,0,1] op_sel_hi:[1,1,0] neg_lo:[1,0,0] neg_hi:[1,0,0]
	v_pk_add_f16 v8, v10, v8
	v_fma_f16 v145, v43, s17, -v144
	v_alignbit_b32 v67, v51, v51, 16
	v_pk_mul_f16 v72, v42, s26
	s_mov_b32 s26, 0xba62bb29
	s_mov_b32 s27, 0x2de8bbdd
	v_pk_fma_f16 v14, v35, s25, v68 op_sel:[0,0,1] op_sel_hi:[1,1,0]
	v_add_f16_e32 v77, v51, v77
	v_fma_f16 v78, v36, s18, v142
	v_pk_fma_f16 v68, v35, s25, v68 op_sel:[0,0,1] op_sel_hi:[1,1,0] neg_lo:[1,0,0] neg_hi:[1,0,0]
	v_pk_add_f16 v8, v8, v9
	v_bfi_b32 v9, s0, v62, v69
	v_add_f16_e32 v141, v145, v141
	v_mul_f16_sdwa v145, v40, s1 dst_sel:DWORD dst_unused:UNUSED_PAD src0_sel:WORD_1 src1_sel:DWORD
	v_pk_mul_f16 v66, v43, s27
	s_mov_b32 s27, 0xb1e1bbf7
	s_mov_b32 s28, 0xb461bacd
	v_add_f16_e32 v77, v78, v77
	v_pk_fma_f16 v78, v38, s26, v72 op_sel:[0,0,1] op_sel_hi:[1,1,0]
	v_fma_f16 v79, v42, s22, v143
	v_pk_fma_f16 v72, v38, s26, v72 op_sel:[0,0,1] op_sel_hi:[1,1,0] neg_lo:[1,0,0] neg_hi:[1,0,0]
	v_pk_add_f16 v9, v67, v9
	v_bfi_b32 v10, s0, v14, v68
	v_fma_f16 v146, v45, s7, -v145
	v_pk_mul_f16 v73, v45, s28
	s_mov_b32 s28, 0x3836bbb2
	s_mov_b32 s30, 0xb8d2b461
	v_add_f16_e32 v77, v79, v77
	v_pk_fma_f16 v79, v39, s27, v66 op_sel:[0,0,1] op_sel_hi:[1,1,0]
	v_fma_f16 v80, v43, s17, v144
	v_pk_fma_f16 v66, v39, s27, v66 op_sel:[0,0,1] op_sel_hi:[1,1,0] neg_lo:[1,0,0] neg_hi:[1,0,0]
	v_pk_add_f16 v9, v10, v9
	v_bfi_b32 v10, s0, v78, v72
	v_add_f16_e32 v141, v146, v141
	v_mul_f16_sdwa v146, v44, s6 dst_sel:DWORD dst_unused:UNUSED_PAD src0_sel:WORD_1 src1_sel:DWORD
	v_pk_mul_f16 v64, v47, s30
	s_mov_b32 s30, 0x3bb2ba62
	s_mov_b32 s31, 0xbacd3722
	v_add_f16_e32 v77, v80, v77
	v_pk_fma_f16 v80, v40, s28, v73 op_sel:[0,0,1] op_sel_hi:[1,1,0]
	v_fma_f16 v81, v45, s7, v145
	v_pk_fma_f16 v73, v40, s28, v73 op_sel:[0,0,1] op_sel_hi:[1,1,0] neg_lo:[1,0,0] neg_hi:[1,0,0]
	v_pk_add_f16 v9, v10, v9
	v_bfi_b32 v10, s0, v79, v66
	v_fma_f16 v147, v47, s8, -v146
	v_pk_mul_f16 v75, v48, s31
	s_mov_b32 s31, 0x3b29b836
	v_add_f16_e32 v77, v81, v77
	v_pk_fma_f16 v81, v44, s30, v64 op_sel:[0,0,1] op_sel_hi:[1,1,0]
	v_fma_f16 v82, v47, s8, v146
	v_pk_fma_f16 v64, v44, s30, v64 op_sel:[0,0,1] op_sel_hi:[1,1,0] neg_lo:[1,0,0] neg_hi:[1,0,0]
	v_pk_add_f16 v9, v10, v9
	v_bfi_b32 v10, s0, v80, v73
	v_add_f16_e32 v141, v147, v141
	v_mul_f16_sdwa v147, v46, s9 dst_sel:DWORD dst_unused:UNUSED_PAD src0_sel:WORD_1 src1_sel:DWORD
	s_mov_b32 s33, 0xbbdd3b76
	v_add_f16_e32 v77, v82, v77
	v_pk_fma_f16 v82, v46, s31, v75 op_sel:[0,0,1] op_sel_hi:[1,1,0]
	v_pk_fma_f16 v75, v46, s31, v75 op_sel:[0,0,1] op_sel_hi:[1,1,0] neg_lo:[1,0,0] neg_hi:[1,0,0]
	v_pk_add_f16 v9, v10, v9
	v_bfi_b32 v10, s0, v81, v64
	v_fma_f16 v148, v48, s16, -v147
	v_pk_mul_f16 v63, v50, s33
	s_mov_b32 s33, 0x35c8b1e1
	v_fma_f16 v83, v48, s16, v147
	v_pk_add_f16 v9, v10, v9
	v_bfi_b32 v10, s0, v82, v75
	v_add_f16_e32 v141, v148, v141
	v_mul_f16_sdwa v148, v49, s19 dst_sel:DWORD dst_unused:UNUSED_PAD src0_sel:WORD_1 src1_sel:DWORD
	v_add_f16_e32 v77, v83, v77
	v_pk_fma_f16 v83, v49, s33, v63 op_sel:[0,0,1] op_sel_hi:[1,1,0] neg_lo:[1,0,0] neg_hi:[1,0,0]
	v_pk_add_f16 v9, v10, v9
	v_pk_fma_f16 v10, v49, s33, v63 op_sel:[0,0,1] op_sel_hi:[1,1,0]
	v_fma_f16 v149, v50, s21, -v148
	v_fma_f16 v84, v50, s21, v148
	v_bfi_b32 v10, s0, v10, v83
	v_add_f16_e32 v141, v149, v141
	v_add_f16_e32 v77, v84, v77
	v_lshlrev_b32_e32 v84, 6, v5
	v_pk_add_f16 v9, v10, v9
	v_add3_u32 v41, v41, v84, v28
	v_alignbit_b32 v10, v132, v9, 16
	v_pack_b32_f16 v9, v141, v9
	ds_write2_b32 v41, v9, v10 offset0:1 offset1:2
	v_pack_b32_f16 v9, v105, v96
	v_pack_b32_f16 v10, v123, v114
	ds_write2_b32 v41, v10, v9 offset0:3 offset1:4
	v_pk_add_f16 v9, v51, v54
	v_pk_add_f16 v9, v55, v9
	;; [unrolled: 1-line block ×8, first 2 shown]
	v_pack_b32_f16 v10, v17, v20
	ds_write2_b32 v41, v10, v9 offset0:5 offset1:6
	v_pack_b32_f16 v9, v53, v52
	ds_write2_b32 v41, v8, v9 offset1:7
	v_pk_mul_f16 v8, v37, s21 op_sel_hi:[1,0]
	v_pk_fma_f16 v9, v34, s19, v8 op_sel:[0,0,1] op_sel_hi:[1,0,0] neg_lo:[1,0,0] neg_hi:[1,0,0]
	v_pk_mul_f16 v10, v36, s15 op_sel_hi:[1,0]
	v_pk_add_f16 v9, v67, v9
	v_pk_fma_f16 v11, v35, s29, v10 op_sel:[0,0,1] op_sel_hi:[1,0,0] neg_lo:[1,0,0] neg_hi:[1,0,0]
	v_pk_add_f16 v9, v11, v9
	v_pk_mul_f16 v11, v42, s16 op_sel_hi:[1,0]
	v_pk_fma_f16 v12, v38, s9, v11 op_sel:[0,0,1] op_sel_hi:[1,0,0] neg_lo:[1,0,0] neg_hi:[1,0,0]
	v_pk_add_f16 v13, v67, v62
	v_pk_add_f16 v9, v12, v9
	v_pk_mul_f16 v12, v43, s18 op_sel_hi:[1,0]
	v_pk_add_f16 v13, v14, v13
	v_pk_fma_f16 v14, v39, s23, v12 op_sel:[0,0,1] op_sel_hi:[1,0,0] neg_lo:[1,0,0] neg_hi:[1,0,0]
	v_pk_add_f16 v9, v14, v9
	v_pk_mul_f16 v14, v45, s8 op_sel_hi:[1,0]
	v_pk_fma_f16 v8, v34, s19, v8 op_sel:[0,0,1] op_sel_hi:[1,0,0]
	v_pk_fma_f16 v17, v40, s6, v14 op_sel:[0,0,1] op_sel_hi:[1,0,0] neg_lo:[1,0,0] neg_hi:[1,0,0]
	v_pk_add_f16 v8, v67, v8
	v_pk_fma_f16 v10, v35, s29, v10 op_sel:[0,0,1] op_sel_hi:[1,0,0]
	v_pk_add_f16 v9, v17, v9
	v_pk_mul_f16 v17, v47, s22 op_sel_hi:[1,0]
	v_pk_add_f16 v8, v10, v8
	v_pk_fma_f16 v10, v38, s9, v11 op_sel:[0,0,1] op_sel_hi:[1,0,0]
	v_pk_fma_f16 v20, v44, s20, v17 op_sel:[0,0,1] op_sel_hi:[1,0,0] neg_lo:[1,0,0] neg_hi:[1,0,0]
	v_pk_add_f16 v8, v10, v8
	v_pk_fma_f16 v10, v39, s23, v12 op_sel:[0,0,1] op_sel_hi:[1,0,0]
	v_pk_add_f16 v9, v20, v9
	v_pk_mul_f16 v20, v48, s7 op_sel_hi:[1,0]
	v_pk_add_f16 v8, v10, v8
	;; [unrolled: 7-line block ×3, first 2 shown]
	v_pk_fma_f16 v10, v46, s1, v20 op_sel:[0,0,1] op_sel_hi:[1,0,0]
	v_pk_fma_f16 v37, v49, s14, v36 op_sel:[0,0,1] op_sel_hi:[1,0,0] neg_lo:[1,0,0] neg_hi:[1,0,0]
	v_pk_add_f16 v8, v10, v8
	v_pk_fma_f16 v10, v49, s14, v36 op_sel:[0,0,1] op_sel_hi:[1,0,0]
	v_pk_add_f16 v13, v78, v13
	v_pk_add_f16 v9, v37, v9
	;; [unrolled: 1-line block ×4, first 2 shown]
	v_alignbit_b32 v10, v9, v8, 16
	v_alignbit_b32 v8, v8, v9, 16
	s_mov_b32 s1, 0x5040100
	v_pk_add_f16 v13, v80, v13
	v_add_f16_e32 v84, v67, v69
	ds_write2_b32 v41, v8, v10 offset0:8 offset1:9
	v_pack_b32_f16 v8, v71, v70
	v_perm_b32 v9, v27, v7, s1
	v_mul_f16_e32 v65, 0xb836, v49
	v_pk_add_f16 v13, v81, v13
	v_add_f16_e32 v84, v68, v84
	ds_write2_b32 v41, v8, v9 offset0:10 offset1:11
	v_pack_b32_f16 v8, v18, v16
	v_pack_b32_f16 v9, v15, v21
	v_add_f16_e32 v84, v72, v84
	ds_write2_b32 v41, v9, v8 offset0:12 offset1:13
	v_bfi_b32 v8, s0, v65, v13
	v_pk_mul_f16 v76, v49, s33
	v_add_f16_e32 v84, v66, v84
	v_pk_add_f16 v8, v121, v8 neg_lo:[0,1] neg_hi:[0,1]
	v_pk_add_f16 v9, v82, v13
	v_add_f16_e32 v84, v73, v84
	v_bfi_b32 v8, s0, v8, v9
	v_pack_b32_f16 v9, v74, v63
	v_bfi_b32 v10, s0, v19, v76
	v_add_f16_e32 v84, v64, v84
	v_pk_add_f16 v9, v9, v10
	v_add_f16_e32 v84, v75, v84
	v_pk_add_f16 v8, v8, v9
	v_add_f16_e32 v84, v83, v84
	v_alignbit_b32 v9, v23, v8, 16
	v_pack_b32_f16 v8, v22, v8
	ds_write2_b32 v41, v8, v9 offset0:14 offset1:15
	v_pack_b32_f16 v8, v77, v84
	ds_write_b32 v41, v8 offset:64
.LBB0_15:
	s_or_b64 exec, exec, s[2:3]
	s_movk_i32 s0, 0xf1
	v_mul_lo_u16_sdwa v8, v5, s0 dst_sel:DWORD dst_unused:UNUSED_PAD src0_sel:BYTE_0 src1_sel:DWORD
	v_lshrrev_b16_e32 v35, 12, v8
	v_mul_lo_u16_e32 v8, 17, v35
	v_sub_u16_e32 v36, v5, v8
	v_mov_b32_e32 v8, 10
	v_mul_u32_u24_sdwa v8, v36, v8 dst_sel:DWORD dst_unused:UNUSED_PAD src0_sel:BYTE_0 src1_sel:DWORD
	v_lshlrev_b32_e32 v18, 2, v8
	s_load_dwordx2 s[2:3], s[4:5], 0x0
	s_waitcnt lgkmcnt(0)
	s_barrier
	global_load_dwordx4 v[8:11], v18, s[12:13]
	global_load_dwordx4 v[12:15], v18, s[12:13] offset:16
	global_load_dwordx2 v[16:17], v18, s[12:13] offset:32
	ds_read2_b32 v[18:19], v26 offset0:102 offset1:204
	ds_read2_b32 v[20:21], v32 offset0:50 offset1:152
	;; [unrolled: 1-line block ×4, first 2 shown]
	ds_read_b32 v37, v24
	ds_read_u16 v38, v26 offset:2042
	ds_read2_b32 v[33:34], v6 offset0:150 offset1:252
	s_waitcnt lgkmcnt(6)
	v_lshrrev_b32_e32 v43, 16, v18
	s_waitcnt lgkmcnt(4)
	v_lshrrev_b32_e32 v6, 16, v23
	;; [unrolled: 2-line block ×3, first 2 shown]
	v_lshrrev_b32_e32 v40, 16, v32
	s_waitcnt lgkmcnt(0)
	v_lshrrev_b32_e32 v41, 16, v33
	v_lshrrev_b32_e32 v42, 16, v34
	;; [unrolled: 1-line block ×5, first 2 shown]
	s_movk_i32 s0, 0x3abb
	s_movk_i32 s1, 0x36a6
	s_mov_b32 s4, 0xb08e
	s_mov_b32 s5, 0xb93d
	;; [unrolled: 1-line block ×3, first 2 shown]
	s_waitcnt vmcnt(0)
	s_barrier
	v_mul_f16_sdwa v47, v8, v43 dst_sel:DWORD dst_unused:UNUSED_PAD src0_sel:WORD_1 src1_sel:DWORD
	v_mul_f16_sdwa v48, v8, v18 dst_sel:DWORD dst_unused:UNUSED_PAD src0_sel:WORD_1 src1_sel:DWORD
	;; [unrolled: 1-line block ×4, first 2 shown]
	v_mul_f16_sdwa v55, v38, v12 dst_sel:DWORD dst_unused:UNUSED_PAD src0_sel:DWORD src1_sel:WORD_1
	v_mul_f16_sdwa v56, v12, v22 dst_sel:DWORD dst_unused:UNUSED_PAD src0_sel:WORD_1 src1_sel:DWORD
	v_mul_f16_sdwa v57, v6, v13 dst_sel:DWORD dst_unused:UNUSED_PAD src0_sel:DWORD src1_sel:WORD_1
	v_mul_f16_sdwa v58, v23, v13 dst_sel:DWORD dst_unused:UNUSED_PAD src0_sel:DWORD src1_sel:WORD_1
	;; [unrolled: 1-line block ×6, first 2 shown]
	v_fma_f16 v18, v8, v18, -v47
	v_fma_f16 v8, v8, v43, v48
	v_mul_f16_sdwa v51, v10, v45 dst_sel:DWORD dst_unused:UNUSED_PAD src0_sel:WORD_1 src1_sel:DWORD
	v_mul_f16_sdwa v52, v10, v20 dst_sel:DWORD dst_unused:UNUSED_PAD src0_sel:WORD_1 src1_sel:DWORD
	v_mul_f16_sdwa v60, v31, v14 dst_sel:DWORD dst_unused:UNUSED_PAD src0_sel:DWORD src1_sel:WORD_1
	v_mul_f16_sdwa v62, v32, v15 dst_sel:DWORD dst_unused:UNUSED_PAD src0_sel:DWORD src1_sel:WORD_1
	;; [unrolled: 1-line block ×4, first 2 shown]
	v_fma_f16 v19, v9, v19, -v49
	v_fma_f16 v9, v9, v44, v50
	v_fma_f16 v22, v12, v22, -v55
	v_fma_f16 v12, v38, v12, v56
	;; [unrolled: 2-line block ×3, first 2 shown]
	v_fma_f16 v13, v31, v14, -v59
	v_fma_f16 v31, v32, v15, -v61
	;; [unrolled: 1-line block ×4, first 2 shown]
	v_add_f16_e32 v34, v18, v37
	v_add_f16_sdwa v38, v8, v37 dst_sel:DWORD dst_unused:UNUSED_PAD src0_sel:DWORD src1_sel:WORD_1
	v_mul_f16_sdwa v53, v11, v46 dst_sel:DWORD dst_unused:UNUSED_PAD src0_sel:WORD_1 src1_sel:DWORD
	v_mul_f16_sdwa v54, v11, v21 dst_sel:DWORD dst_unused:UNUSED_PAD src0_sel:WORD_1 src1_sel:DWORD
	v_fma_f16 v20, v10, v20, -v51
	v_fma_f16 v10, v10, v45, v52
	v_add_f16_e32 v34, v34, v19
	v_add_f16_e32 v38, v38, v9
	v_fma_f16 v21, v11, v21, -v53
	v_fma_f16 v11, v11, v46, v54
	v_add_f16_e32 v34, v34, v20
	v_add_f16_e32 v38, v38, v10
	;; [unrolled: 1-line block ×6, first 2 shown]
	v_fma_f16 v14, v39, v14, v60
	v_add_f16_e32 v34, v34, v23
	v_add_f16_e32 v38, v38, v6
	v_fma_f16 v15, v40, v15, v62
	v_add_f16_e32 v34, v34, v13
	v_add_f16_e32 v38, v38, v14
	v_fma_f16 v16, v41, v16, v64
	v_fma_f16 v17, v42, v17, v66
	v_add_f16_e32 v34, v34, v31
	v_add_f16_e32 v38, v38, v15
	;; [unrolled: 1-line block ×4, first 2 shown]
	v_sub_f16_e32 v18, v18, v33
	v_sub_f16_e32 v8, v8, v17
	v_add_f16_e32 v34, v34, v32
	v_add_f16_e32 v38, v38, v16
	v_mul_f16_e32 v41, 0xb853, v8
	v_add_f16_e32 v33, v34, v33
	v_add_f16_e32 v34, v38, v17
	v_mul_f16_e32 v17, 0xb853, v18
	v_mul_f16_e32 v43, 0xbb47, v8
	;; [unrolled: 1-line block ×9, first 2 shown]
	v_fma_f16 v42, v39, s0, -v41
	v_fma_f16 v38, v40, s0, v17
	v_fma_f16 v41, v39, s0, v41
	v_fma_f16 v17, v40, s0, -v17
	v_fma_f16 v44, v39, s1, -v43
	v_fma_f16 v46, v40, s1, v45
	v_fma_f16 v43, v39, s1, v43
	v_fma_f16 v45, v40, s1, -v45
	;; [unrolled: 4-line block ×5, first 2 shown]
	v_add_f16_e32 v39, v9, v16
	v_sub_f16_e32 v9, v9, v16
	v_add_f16_e32 v42, v42, v37
	v_add_f16_sdwa v38, v38, v37 dst_sel:DWORD dst_unused:UNUSED_PAD src0_sel:DWORD src1_sel:WORD_1
	v_add_f16_e32 v41, v41, v37
	v_add_f16_sdwa v17, v17, v37 dst_sel:DWORD dst_unused:UNUSED_PAD src0_sel:DWORD src1_sel:WORD_1
	;; [unrolled: 2-line block ×10, first 2 shown]
	v_add_f16_e32 v37, v19, v32
	v_sub_f16_e32 v19, v19, v32
	v_mul_f16_e32 v16, 0xbb47, v9
	v_fma_f16 v32, v37, s1, -v16
	v_mul_f16_e32 v40, 0xbb47, v19
	v_add_f16_e32 v32, v32, v42
	v_fma_f16 v42, v39, s1, v40
	v_fma_f16 v40, v39, s1, -v40
	v_fma_f16 v16, v37, s1, v16
	v_add_f16_e32 v17, v40, v17
	v_mul_f16_e32 v40, 0xba0c, v9
	v_add_f16_e32 v38, v42, v38
	v_add_f16_e32 v16, v16, v41
	v_fma_f16 v41, v37, s5, -v40
	v_mul_f16_e32 v42, 0xba0c, v19
	v_fma_f16 v40, v37, s5, v40
	v_add_f16_e32 v41, v41, v44
	v_fma_f16 v44, v39, s5, v42
	v_add_f16_e32 v40, v40, v43
	v_fma_f16 v42, v39, s5, -v42
	v_mul_f16_e32 v43, 0x3482, v9
	v_add_f16_e32 v44, v44, v46
	v_add_f16_e32 v42, v42, v45
	v_fma_f16 v45, v37, s6, -v43
	v_mul_f16_e32 v46, 0x3482, v19
	v_fma_f16 v43, v37, s6, v43
	v_add_f16_e32 v45, v45, v48
	v_fma_f16 v48, v39, s6, v46
	v_add_f16_e32 v43, v43, v47
	v_fma_f16 v46, v39, s6, -v46
	v_mul_f16_e32 v47, 0x3beb, v9
	v_add_f16_e32 v48, v48, v50
	v_add_f16_e32 v46, v46, v49
	v_fma_f16 v49, v37, s4, -v47
	v_mul_f16_e32 v50, 0x3beb, v19
	v_fma_f16 v47, v37, s4, v47
	v_mul_f16_e32 v9, 0x3853, v9
	v_add_f16_e32 v49, v49, v52
	v_fma_f16 v52, v39, s4, v50
	v_add_f16_e32 v47, v47, v51
	v_fma_f16 v50, v39, s4, -v50
	v_fma_f16 v51, v37, s0, -v9
	v_mul_f16_e32 v19, 0x3853, v19
	v_fma_f16 v9, v37, s0, v9
	v_add_f16_e32 v50, v50, v53
	v_fma_f16 v53, v39, s0, v19
	v_add_f16_e32 v8, v9, v8
	v_fma_f16 v9, v39, s0, -v19
	v_add_f16_e32 v19, v10, v15
	v_sub_f16_e32 v10, v10, v15
	v_add_f16_e32 v9, v9, v18
	v_add_f16_e32 v18, v20, v31
	v_mul_f16_e32 v15, 0xbbeb, v10
	v_sub_f16_e32 v20, v20, v31
	v_fma_f16 v31, v18, s4, -v15
	v_add_f16_e32 v31, v31, v32
	v_mul_f16_e32 v32, 0xbbeb, v20
	v_fma_f16 v15, v18, s4, v15
	v_add_f16_e32 v15, v15, v16
	v_fma_f16 v16, v19, s4, -v32
	v_add_f16_e32 v16, v16, v17
	v_mul_f16_e32 v17, 0x3482, v10
	v_fma_f16 v37, v19, s4, v32
	v_fma_f16 v32, v18, s6, -v17
	v_fma_f16 v17, v18, s6, v17
	v_add_f16_e32 v37, v37, v38
	v_mul_f16_e32 v38, 0x3482, v20
	v_add_f16_e32 v17, v17, v40
	v_mul_f16_e32 v40, 0x3b47, v10
	v_add_f16_e32 v32, v32, v41
	v_fma_f16 v39, v19, s6, v38
	v_fma_f16 v38, v19, s6, -v38
	v_fma_f16 v41, v18, s1, -v40
	v_fma_f16 v40, v18, s1, v40
	v_add_f16_e32 v38, v38, v42
	v_mul_f16_e32 v42, 0x3b47, v20
	v_add_f16_e32 v40, v40, v43
	v_mul_f16_e32 v43, 0xb853, v10
	v_add_f16_e32 v39, v39, v44
	v_add_f16_e32 v41, v41, v45
	v_fma_f16 v44, v19, s1, v42
	v_fma_f16 v42, v19, s1, -v42
	v_fma_f16 v45, v18, s0, -v43
	v_fma_f16 v43, v18, s0, v43
	v_mul_f16_e32 v10, 0xba0c, v10
	v_add_f16_e32 v42, v42, v46
	v_mul_f16_e32 v46, 0xb853, v20
	v_add_f16_e32 v43, v43, v47
	v_fma_f16 v47, v18, s5, -v10
	v_mul_f16_e32 v20, 0xba0c, v20
	v_fma_f16 v10, v18, s5, v10
	v_add_f16_e32 v8, v10, v8
	v_fma_f16 v10, v19, s5, -v20
	v_add_f16_e32 v18, v11, v14
	v_sub_f16_e32 v11, v11, v14
	v_add_f16_e32 v9, v10, v9
	v_add_f16_e32 v10, v21, v13
	v_sub_f16_e32 v13, v21, v13
	v_mul_f16_e32 v14, 0xba0c, v11
	v_add_f16_e32 v44, v44, v48
	v_add_f16_e32 v45, v45, v49
	v_fma_f16 v48, v19, s0, v46
	v_fma_f16 v46, v19, s0, -v46
	v_fma_f16 v49, v19, s5, v20
	v_fma_f16 v19, v10, s5, -v14
	v_mul_f16_e32 v20, 0xba0c, v13
	v_fma_f16 v14, v10, s5, v14
	v_add_f16_e32 v14, v14, v15
	v_fma_f16 v15, v18, s5, -v20
	v_add_f16_e32 v15, v15, v16
	v_mul_f16_e32 v16, 0x3beb, v11
	v_add_f16_e32 v19, v19, v31
	v_fma_f16 v21, v18, s5, v20
	v_fma_f16 v20, v10, s4, -v16
	v_mul_f16_e32 v31, 0x3beb, v13
	v_fma_f16 v16, v10, s4, v16
	v_add_f16_e32 v17, v16, v17
	v_fma_f16 v16, v18, s4, -v31
	v_add_f16_e32 v20, v20, v32
	v_fma_f16 v32, v18, s4, v31
	v_add_f16_e32 v31, v16, v38
	v_mul_f16_e32 v16, 0xb853, v11
	v_add_f16_e32 v21, v21, v37
	v_fma_f16 v37, v10, s0, -v16
	v_mul_f16_e32 v38, 0xb853, v13
	v_fma_f16 v16, v10, s0, v16
	v_add_f16_e32 v40, v16, v40
	v_fma_f16 v16, v18, s0, -v38
	v_add_f16_e32 v32, v32, v39
	v_fma_f16 v39, v18, s0, v38
	v_add_f16_e32 v38, v16, v42
	v_mul_f16_e32 v16, 0xb482, v11
	v_add_f16_e32 v37, v37, v41
	v_fma_f16 v41, v10, s6, -v16
	v_mul_f16_e32 v42, 0xb482, v13
	v_fma_f16 v16, v10, s6, v16
	v_add_f16_e32 v51, v51, v55
	v_add_f16_e32 v46, v46, v50
	;; [unrolled: 1-line block ×3, first 2 shown]
	v_fma_f16 v16, v18, s6, -v42
	v_mul_f16_e32 v11, 0x3b47, v11
	v_add_f16_e32 v47, v47, v51
	v_add_f16_e32 v39, v39, v44
	v_fma_f16 v44, v18, s6, v42
	v_add_f16_e32 v42, v16, v46
	v_fma_f16 v16, v10, s1, -v11
	v_add_f16_e32 v41, v41, v45
	v_add_f16_e32 v45, v16, v47
	v_mul_f16_e32 v13, 0x3b47, v13
	v_fma_f16 v10, v10, s1, v11
	v_add_f16_e32 v47, v12, v6
	v_sub_f16_e32 v12, v12, v6
	v_fma_f16 v16, v18, s1, v13
	v_add_f16_e32 v8, v10, v8
	v_fma_f16 v10, v18, s1, -v13
	v_add_f16_e32 v18, v22, v23
	v_mul_f16_e32 v6, 0xb482, v12
	v_add_f16_e32 v13, v10, v9
	v_sub_f16_e32 v22, v22, v23
	v_fma_f16 v9, v18, s6, -v6
	v_add_f16_e32 v53, v53, v56
	v_add_f16_e32 v23, v9, v19
	v_mul_f16_e32 v9, 0xb482, v22
	v_add_f16_e32 v49, v49, v53
	v_fma_f16 v10, v47, s6, v9
	v_fma_f16 v9, v47, s6, -v9
	v_add_f16_e32 v46, v16, v49
	v_add_f16_e32 v16, v9, v15
	v_mul_f16_e32 v9, 0x3853, v12
	v_add_f16_e32 v21, v10, v21
	v_fma_f16 v6, v18, s6, v6
	v_fma_f16 v10, v18, s0, -v9
	v_add_f16_e32 v6, v6, v14
	v_add_f16_e32 v14, v10, v20
	v_mul_f16_e32 v10, 0x3853, v22
	v_fma_f16 v11, v47, s0, v10
	v_fma_f16 v9, v18, s0, v9
	v_add_f16_e32 v15, v11, v32
	v_add_f16_e32 v11, v9, v17
	v_fma_f16 v9, v47, s0, -v10
	v_add_f16_e32 v17, v9, v31
	v_mul_f16_e32 v9, 0xba0c, v12
	v_fma_f16 v10, v18, s5, -v9
	v_mul_f16_e32 v19, 0xba0c, v22
	v_add_f16_e32 v31, v10, v37
	v_fma_f16 v10, v47, s5, v19
	v_fma_f16 v9, v18, s5, v9
	v_add_f16_e32 v32, v10, v39
	v_add_f16_e32 v10, v9, v40
	v_fma_f16 v9, v47, s5, -v19
	v_add_f16_e32 v19, v9, v38
	v_mul_f16_e32 v9, 0x3b47, v12
	v_fma_f16 v20, v18, s1, -v9
	v_mul_f16_e32 v12, 0xbbeb, v12
	v_add_f16_e32 v37, v20, v41
	v_mul_f16_e32 v20, 0x3b47, v22
	v_fma_f16 v39, v18, s4, -v12
	v_mul_f16_e32 v22, 0xbbeb, v22
	v_fma_f16 v12, v18, s4, v12
	v_add_f16_e32 v8, v12, v8
	v_fma_f16 v12, v47, s4, -v22
	v_add_f16_e32 v52, v52, v54
	v_fma_f16 v9, v18, s1, v9
	v_add_f16_e32 v18, v12, v13
	s_movk_i32 s0, 0x2ec
	v_mov_b32_e32 v13, 2
	v_add_f16_e32 v48, v48, v52
	v_mad_u32_u24 v12, v35, s0, 0
	v_lshlrev_b32_sdwa v13, v13, v36 dst_sel:DWORD dst_unused:UNUSED_PAD src0_sel:DWORD src1_sel:BYTE_0
	v_add_f16_e32 v44, v44, v48
	v_fma_f16 v38, v47, s1, v20
	v_fma_f16 v40, v47, s4, v22
	v_add3_u32 v12, v12, v13, v28
	v_pack_b32_f16 v13, v33, v34
	v_pack_b32_f16 v21, v23, v21
	v_add_f16_e32 v38, v38, v44
	v_fma_f16 v20, v47, s1, -v20
	v_add_f16_e32 v39, v39, v45
	v_add_f16_e32 v40, v40, v46
	ds_write2_b32 v12, v13, v21 offset1:17
	v_pack_b32_f16 v13, v14, v15
	v_pack_b32_f16 v14, v31, v32
	v_add_f16_e32 v9, v9, v43
	v_add_f16_e32 v20, v20, v42
	ds_write2_b32 v12, v13, v14 offset0:34 offset1:51
	v_pack_b32_f16 v13, v37, v38
	v_pack_b32_f16 v14, v39, v40
	ds_write2_b32 v12, v13, v14 offset0:68 offset1:85
	v_pack_b32_f16 v13, v8, v18
	v_pack_b32_f16 v14, v9, v20
	;; [unrolled: 3-line block ×3, first 2 shown]
	ds_write2_b32 v12, v13, v14 offset0:136 offset1:153
	v_pack_b32_f16 v13, v6, v16
	ds_write_b32 v12, v13 offset:680
	s_waitcnt lgkmcnt(0)
	s_barrier
	ds_read2_b32 v[14:15], v29 offset0:59 offset1:246
	ds_read2_b32 v[12:13], v30 offset0:49 offset1:236
	ds_read_b32 v21, v24
	ds_read_b32 v22, v26 offset:3740
	s_movk_i32 s0, 0x55
	v_cmp_gt_u32_e64 s[0:1], s0, v5
	s_and_saveexec_b64 s[4:5], s[0:1]
	s_cbranch_execz .LBB0_17
; %bb.16:
	v_add_u32_e32 v6, 0x100, v26
	ds_read2_b32 v[8:9], v6 offset0:38 offset1:225
	v_add_u32_e32 v6, 0x700, v26
	ds_read2_b32 v[10:11], v6 offset0:28 offset1:215
	v_add_u32_e32 v6, 0xd00, v26
	ds_read2_b32 v[6:7], v6 offset0:18 offset1:205
	s_waitcnt lgkmcnt(2)
	v_lshrrev_b32_e32 v18, 16, v8
	v_lshrrev_b32_e32 v20, 16, v9
	s_waitcnt lgkmcnt(1)
	v_lshrrev_b32_e32 v17, 16, v11
	v_lshrrev_b32_e32 v19, 16, v10
	;; [unrolled: 3-line block ×3, first 2 shown]
.LBB0_17:
	s_or_b64 exec, exec, s[4:5]
	v_mul_u32_u24_e32 v23, 5, v5
	v_lshlrev_b32_e32 v23, 2, v23
	global_load_dwordx4 v[28:31], v23, s[12:13] offset:680
	global_load_dword v32, v23, s[12:13] offset:696
	s_waitcnt lgkmcnt(0)
	v_lshrrev_b32_e32 v33, 16, v22
	v_lshrrev_b32_e32 v34, 16, v13
	;; [unrolled: 1-line block ×6, first 2 shown]
	s_movk_i32 s6, 0x3aee
	s_mov_b32 s7, 0xbaee
	v_add_u32_e32 v38, 0x500, v26
	s_waitcnt vmcnt(0)
	s_barrier
	v_mul_f16_sdwa v39, v28, v37 dst_sel:DWORD dst_unused:UNUSED_PAD src0_sel:WORD_1 src1_sel:DWORD
	v_mul_f16_sdwa v40, v28, v14 dst_sel:DWORD dst_unused:UNUSED_PAD src0_sel:WORD_1 src1_sel:DWORD
	;; [unrolled: 1-line block ×10, first 2 shown]
	v_fma_f16 v14, v28, v14, -v39
	v_fma_f16 v28, v28, v37, v40
	v_fma_f16 v15, v29, v15, -v41
	v_fma_f16 v29, v29, v36, v42
	;; [unrolled: 2-line block ×5, first 2 shown]
	v_sub_f16_e32 v35, v29, v31
	v_add_f16_e32 v36, v23, v29
	v_add_f16_e32 v29, v29, v31
	;; [unrolled: 1-line block ×3, first 2 shown]
	v_sub_f16_e32 v40, v30, v32
	v_add_f16_e32 v41, v28, v30
	v_add_f16_e32 v30, v30, v32
	;; [unrolled: 1-line block ×4, first 2 shown]
	v_sub_f16_e32 v15, v15, v13
	v_add_f16_e32 v37, v14, v12
	v_sub_f16_e32 v12, v12, v22
	v_fma_f16 v23, v29, -0.5, v23
	v_fma_f16 v14, v39, -0.5, v14
	;; [unrolled: 1-line block ×3, first 2 shown]
	v_add_f16_e32 v13, v33, v13
	v_fma_f16 v21, v34, -0.5, v21
	v_add_f16_e32 v31, v36, v31
	v_add_f16_e32 v22, v37, v22
	;; [unrolled: 1-line block ×3, first 2 shown]
	v_fma_f16 v32, v15, s7, v23
	v_fma_f16 v15, v15, s6, v23
	;; [unrolled: 1-line block ×8, first 2 shown]
	v_add_f16_e32 v28, v13, v22
	v_add_f16_e32 v34, v31, v29
	v_sub_f16_e32 v13, v13, v22
	v_sub_f16_e32 v22, v31, v29
	v_mul_f16_e32 v29, 0x3aee, v33
	v_mul_f16_e32 v35, 0xbaee, v23
	v_mul_f16_e32 v31, -0.5, v14
	v_mul_f16_e32 v36, -0.5, v12
	v_pack_b32_f16 v13, v13, v22
	v_fma_f16 v22, v23, 0.5, v29
	v_fma_f16 v23, v33, 0.5, v35
	v_fma_f16 v12, v12, s6, v31
	v_fma_f16 v14, v14, s7, v36
	v_add_f16_e32 v29, v30, v22
	v_add_f16_e32 v33, v32, v23
	v_pack_b32_f16 v28, v28, v34
	v_add_f16_e32 v31, v21, v12
	v_add_f16_e32 v34, v15, v14
	v_sub_f16_e32 v22, v30, v22
	v_sub_f16_e32 v12, v21, v12
	v_sub_f16_e32 v21, v32, v23
	v_sub_f16_e32 v14, v15, v14
	v_pack_b32_f16 v15, v29, v33
	v_pack_b32_f16 v23, v31, v34
	;; [unrolled: 1-line block ×4, first 2 shown]
	ds_write2_b32 v26, v28, v15 offset1:187
	ds_write2_b32 v38, v23, v13 offset0:54 offset1:241
	v_add_u32_e32 v13, 0xb00, v26
	ds_write2_b32 v13, v21, v12 offset0:44 offset1:231
	s_and_saveexec_b64 s[4:5], s[0:1]
	s_cbranch_execz .LBB0_19
; %bb.18:
	v_add_u32_e32 v12, 0x66, v5
	v_add_u32_e32 v13, 0xffffffab, v5
	v_cndmask_b32_e64 v12, v13, v12, s[0:1]
	v_mul_i32_i24_e32 v12, 5, v12
	v_mov_b32_e32 v13, 0
	v_lshlrev_b64 v[12:13], 2, v[12:13]
	v_mov_b32_e32 v14, s13
	v_add_co_u32_e64 v21, s[0:1], s12, v12
	v_addc_co_u32_e64 v22, s[0:1], v14, v13, s[0:1]
	global_load_dwordx4 v[12:15], v[21:22], off offset:680
	global_load_dword v23, v[21:22], off offset:696
	v_add_u32_e32 v21, 0x100, v26
	v_add_u32_e32 v22, 0x700, v26
	;; [unrolled: 1-line block ×3, first 2 shown]
	s_waitcnt vmcnt(1)
	v_mul_f16_sdwa v29, v16, v15 dst_sel:DWORD dst_unused:UNUSED_PAD src0_sel:DWORD src1_sel:WORD_1
	v_mul_f16_sdwa v31, v6, v15 dst_sel:DWORD dst_unused:UNUSED_PAD src0_sel:DWORD src1_sel:WORD_1
	v_mul_f16_sdwa v33, v17, v14 dst_sel:DWORD dst_unused:UNUSED_PAD src0_sel:DWORD src1_sel:WORD_1
	s_waitcnt vmcnt(0)
	v_mul_f16_sdwa v34, v27, v23 dst_sel:DWORD dst_unused:UNUSED_PAD src0_sel:DWORD src1_sel:WORD_1
	v_mul_f16_sdwa v35, v11, v14 dst_sel:DWORD dst_unused:UNUSED_PAD src0_sel:DWORD src1_sel:WORD_1
	;; [unrolled: 1-line block ×7, first 2 shown]
	v_fma_f16 v6, v6, v15, -v29
	v_fma_f16 v15, v16, v15, v31
	v_fma_f16 v11, v11, v14, -v33
	v_fma_f16 v7, v7, v23, -v34
	v_fma_f16 v14, v17, v14, v35
	v_fma_f16 v16, v27, v23, v36
	v_fma_f16 v10, v10, v13, -v28
	v_fma_f16 v13, v19, v13, v30
	v_fma_f16 v9, v9, v12, -v32
	v_fma_f16 v12, v20, v12, v37
	v_add_f16_e32 v20, v11, v7
	v_add_f16_e32 v28, v14, v16
	v_sub_f16_e32 v17, v10, v6
	v_add_f16_e32 v19, v13, v15
	v_sub_f16_e32 v23, v14, v16
	v_sub_f16_e32 v27, v11, v7
	v_add_f16_e32 v29, v18, v13
	v_add_f16_e32 v14, v12, v14
	;; [unrolled: 1-line block ×5, first 2 shown]
	v_fma_f16 v9, v20, -0.5, v9
	v_fma_f16 v12, v28, -0.5, v12
	v_sub_f16_e32 v13, v13, v15
	v_fma_f16 v18, v19, -0.5, v18
	v_add_f16_e32 v15, v29, v15
	v_add_f16_e32 v14, v14, v16
	v_fma_f16 v8, v30, -0.5, v8
	v_add_f16_e32 v6, v10, v6
	v_add_f16_e32 v7, v11, v7
	v_fma_f16 v11, v23, s7, v9
	v_fma_f16 v16, v27, s6, v12
	;; [unrolled: 1-line block ×6, first 2 shown]
	v_sub_f16_e32 v18, v15, v14
	v_fma_f16 v19, v13, s7, v8
	v_fma_f16 v8, v13, s6, v8
	v_sub_f16_e32 v13, v6, v7
	v_add_f16_e32 v14, v15, v14
	v_add_f16_e32 v6, v6, v7
	v_mul_f16_e32 v7, -0.5, v16
	v_mul_f16_e32 v15, 0xbaee, v9
	v_mul_f16_e32 v23, 0x3aee, v12
	v_mul_f16_e32 v20, -0.5, v11
	v_fma_f16 v7, v11, s7, v7
	v_fma_f16 v11, v12, 0.5, v15
	v_fma_f16 v9, v9, 0.5, v23
	v_pack_b32_f16 v6, v6, v14
	v_pack_b32_f16 v13, v13, v18
	v_fma_f16 v12, v16, s6, v20
	v_sub_f16_e32 v14, v10, v7
	v_sub_f16_e32 v18, v8, v9
	v_add_f16_e32 v7, v10, v7
	v_add_f16_e32 v10, v17, v11
	;; [unrolled: 1-line block ×3, first 2 shown]
	v_sub_f16_e32 v15, v17, v11
	v_sub_f16_e32 v16, v19, v12
	v_add_f16_e32 v11, v19, v12
	v_pack_b32_f16 v8, v8, v10
	v_pack_b32_f16 v7, v11, v7
	;; [unrolled: 1-line block ×4, first 2 shown]
	ds_write2_b32 v21, v6, v8 offset0:38 offset1:225
	ds_write2_b32 v22, v7, v13 offset0:28 offset1:215
	;; [unrolled: 1-line block ×3, first 2 shown]
.LBB0_19:
	s_or_b64 exec, exec, s[4:5]
	s_waitcnt lgkmcnt(0)
	s_barrier
	ds_read_b32 v11, v24
	s_add_u32 s6, s12, 0x1144
	s_addc_u32 s7, s13, 0
	v_sub_u32_e32 v8, v0, v25
	v_cmp_ne_u32_e64 s[0:1], 0, v5
                                        ; implicit-def: $vgpr10
                                        ; implicit-def: $vgpr9
                                        ; implicit-def: $vgpr6_vgpr7
	s_and_saveexec_b64 s[4:5], s[0:1]
	s_xor_b64 s[4:5], exec, s[4:5]
	s_cbranch_execz .LBB0_21
; %bb.20:
	v_mov_b32_e32 v6, 0
	v_lshlrev_b64 v[9:10], 2, v[5:6]
	v_mov_b32_e32 v7, s7
	v_add_co_u32_e64 v9, s[0:1], s6, v9
	v_addc_co_u32_e64 v10, s[0:1], v7, v10, s[0:1]
	global_load_dword v7, v[9:10], off
	ds_read_b32 v9, v8 offset:4488
	s_waitcnt lgkmcnt(0)
	v_add_f16_sdwa v12, v9, v11 dst_sel:DWORD dst_unused:UNUSED_PAD src0_sel:WORD_1 src1_sel:WORD_1
	v_sub_f16_e32 v13, v11, v9
	v_add_f16_e32 v10, v9, v11
	v_sub_f16_sdwa v9, v11, v9 dst_sel:DWORD dst_unused:UNUSED_PAD src0_sel:WORD_1 src1_sel:WORD_1
	v_mul_f16_e32 v11, 0.5, v12
	v_mul_f16_e32 v12, 0.5, v13
	;; [unrolled: 1-line block ×3, first 2 shown]
	s_waitcnt vmcnt(0)
	v_lshrrev_b32_e32 v13, 16, v7
	v_mul_f16_e32 v14, v13, v12
	v_fma_f16 v15, v11, v13, v9
	v_fma_f16 v9, v11, v13, -v9
	v_fma_f16 v13, v10, 0.5, v14
	v_fma_f16 v10, v10, 0.5, -v14
	v_fma_f16 v15, -v7, v12, v15
	v_fma_f16 v12, -v7, v12, v9
	v_fma_f16 v9, v7, v11, v13
	v_fma_f16 v10, -v7, v11, v10
	v_mov_b32_e32 v7, v6
	ds_write_b16 v24, v15 offset:2
	ds_write_b16 v8, v12 offset:4490
	v_mov_b32_e32 v6, v5
                                        ; implicit-def: $vgpr11
.LBB0_21:
	s_andn2_saveexec_b64 s[0:1], s[4:5]
	s_cbranch_execz .LBB0_23
; %bb.22:
	v_mov_b32_e32 v6, 0
	ds_write_b16 v24, v6 offset:2
	ds_write_b16 v8, v6 offset:4490
	ds_read_u16 v6, v0 offset:2246
	s_waitcnt lgkmcnt(3)
	v_add_f16_sdwa v9, v11, v11 dst_sel:DWORD dst_unused:UNUSED_PAD src0_sel:WORD_1 src1_sel:DWORD
	v_sub_f16_sdwa v10, v11, v11 dst_sel:DWORD dst_unused:UNUSED_PAD src0_sel:DWORD src1_sel:WORD_1
	s_waitcnt lgkmcnt(0)
	v_xor_b32_e32 v11, 0x8000, v6
	v_mov_b32_e32 v6, 0
	v_mov_b32_e32 v7, 0
	ds_write_b16 v0, v11 offset:2246
.LBB0_23:
	s_or_b64 exec, exec, s[0:1]
	v_lshlrev_b64 v[6:7], 2, v[6:7]
	s_waitcnt lgkmcnt(0)
	v_mov_b32_e32 v11, s7
	v_add_co_u32_e64 v6, s[0:1], s6, v6
	v_addc_co_u32_e64 v7, s[0:1], v11, v7, s[0:1]
	global_load_dword v11, v[6:7], off offset:408
	global_load_dword v12, v[6:7], off offset:816
	;; [unrolled: 1-line block ×3, first 2 shown]
	ds_write_b16 v24, v9
	ds_write_b16 v8, v10 offset:4488
	ds_read_b32 v9, v24 offset:408
	ds_read_b32 v10, v8 offset:4080
	global_load_dword v14, v[6:7], off offset:1632
	s_mov_b32 s6, 0xffff
	v_cmp_gt_u32_e64 s[0:1], 51, v5
	s_waitcnt lgkmcnt(0)
	v_pk_add_f16 v15, v9, v10 neg_lo:[0,1] neg_hi:[0,1]
	v_pk_add_f16 v9, v9, v10
	v_bfi_b32 v10, s6, v15, v9
	v_bfi_b32 v9, s6, v9, v15
	v_pk_mul_f16 v10, v10, 0.5 op_sel_hi:[1,0]
	v_pk_mul_f16 v9, v9, 0.5 op_sel_hi:[1,0]
	s_waitcnt vmcnt(3)
	v_pk_fma_f16 v15, v11, v10, v9 op_sel:[1,0,0]
	v_pk_mul_f16 v16, v11, v10 op_sel_hi:[0,1]
	v_pk_fma_f16 v17, v11, v10, v9 op_sel:[1,0,0] neg_lo:[1,0,0] neg_hi:[1,0,0]
	v_pk_fma_f16 v9, v11, v10, v9 op_sel:[1,0,0] neg_lo:[0,0,1] neg_hi:[0,0,1]
	v_pk_add_f16 v10, v15, v16 op_sel:[0,1] op_sel_hi:[1,0]
	v_pk_add_f16 v11, v15, v16 op_sel:[0,1] op_sel_hi:[1,0] neg_lo:[0,1] neg_hi:[0,1]
	v_pk_add_f16 v15, v17, v16 op_sel:[0,1] op_sel_hi:[1,0] neg_lo:[0,1] neg_hi:[0,1]
	v_pk_add_f16 v9, v9, v16 op_sel:[0,1] op_sel_hi:[1,0] neg_lo:[0,1] neg_hi:[0,1]
	v_bfi_b32 v10, s6, v10, v11
	v_bfi_b32 v9, s6, v15, v9
	ds_write_b32 v24, v10 offset:408
	ds_write_b32 v8, v9 offset:4080
	ds_read_b32 v9, v24 offset:816
	ds_read_b32 v10, v8 offset:3672
	s_waitcnt lgkmcnt(0)
	v_pk_add_f16 v11, v9, v10 neg_lo:[0,1] neg_hi:[0,1]
	v_pk_add_f16 v9, v9, v10
	v_bfi_b32 v10, s6, v11, v9
	v_bfi_b32 v9, s6, v9, v11
	v_pk_mul_f16 v10, v10, 0.5 op_sel_hi:[1,0]
	v_pk_mul_f16 v9, v9, 0.5 op_sel_hi:[1,0]
	s_waitcnt vmcnt(2)
	v_pk_fma_f16 v11, v12, v10, v9 op_sel:[1,0,0]
	v_pk_mul_f16 v15, v12, v10 op_sel_hi:[0,1]
	v_pk_fma_f16 v16, v12, v10, v9 op_sel:[1,0,0] neg_lo:[1,0,0] neg_hi:[1,0,0]
	v_pk_fma_f16 v9, v12, v10, v9 op_sel:[1,0,0] neg_lo:[0,0,1] neg_hi:[0,0,1]
	v_pk_add_f16 v10, v11, v15 op_sel:[0,1] op_sel_hi:[1,0]
	v_pk_add_f16 v11, v11, v15 op_sel:[0,1] op_sel_hi:[1,0] neg_lo:[0,1] neg_hi:[0,1]
	v_pk_add_f16 v12, v16, v15 op_sel:[0,1] op_sel_hi:[1,0] neg_lo:[0,1] neg_hi:[0,1]
	v_pk_add_f16 v9, v9, v15 op_sel:[0,1] op_sel_hi:[1,0] neg_lo:[0,1] neg_hi:[0,1]
	v_bfi_b32 v10, s6, v10, v11
	v_bfi_b32 v9, s6, v12, v9
	ds_write_b32 v24, v10 offset:816
	ds_write_b32 v8, v9 offset:3672
	ds_read_b32 v9, v24 offset:1224
	ds_read_b32 v10, v8 offset:3264
	;; [unrolled: 22-line block ×3, first 2 shown]
	s_waitcnt lgkmcnt(0)
	v_pk_add_f16 v11, v9, v10 neg_lo:[0,1] neg_hi:[0,1]
	v_pk_add_f16 v9, v9, v10
	v_bfi_b32 v10, s6, v11, v9
	v_bfi_b32 v9, s6, v9, v11
	v_pk_mul_f16 v10, v10, 0.5 op_sel_hi:[1,0]
	v_pk_mul_f16 v9, v9, 0.5 op_sel_hi:[1,0]
	s_waitcnt vmcnt(0)
	v_pk_fma_f16 v11, v14, v10, v9 op_sel:[1,0,0]
	v_pk_mul_f16 v12, v14, v10 op_sel_hi:[0,1]
	v_pk_fma_f16 v13, v14, v10, v9 op_sel:[1,0,0] neg_lo:[1,0,0] neg_hi:[1,0,0]
	v_pk_fma_f16 v9, v14, v10, v9 op_sel:[1,0,0] neg_lo:[0,0,1] neg_hi:[0,0,1]
	v_pk_add_f16 v10, v11, v12 op_sel:[0,1] op_sel_hi:[1,0]
	v_pk_add_f16 v11, v11, v12 op_sel:[0,1] op_sel_hi:[1,0] neg_lo:[0,1] neg_hi:[0,1]
	v_pk_add_f16 v13, v13, v12 op_sel:[0,1] op_sel_hi:[1,0] neg_lo:[0,1] neg_hi:[0,1]
	;; [unrolled: 1-line block ×3, first 2 shown]
	v_bfi_b32 v10, s6, v10, v11
	v_bfi_b32 v9, s6, v13, v9
	ds_write_b32 v24, v10 offset:1632
	ds_write_b32 v8, v9 offset:2856
	s_and_saveexec_b64 s[4:5], s[0:1]
	s_cbranch_execz .LBB0_25
; %bb.24:
	global_load_dword v6, v[6:7], off offset:2040
	ds_read_b32 v7, v24 offset:2040
	ds_read_b32 v9, v8 offset:2448
	s_waitcnt lgkmcnt(0)
	v_pk_add_f16 v10, v7, v9 neg_lo:[0,1] neg_hi:[0,1]
	v_pk_add_f16 v7, v7, v9
	v_bfi_b32 v9, s6, v10, v7
	v_bfi_b32 v7, s6, v7, v10
	v_pk_mul_f16 v9, v9, 0.5 op_sel_hi:[1,0]
	v_pk_mul_f16 v7, v7, 0.5 op_sel_hi:[1,0]
	s_waitcnt vmcnt(0)
	v_pk_fma_f16 v10, v6, v9, v7 op_sel:[1,0,0]
	v_pk_mul_f16 v11, v6, v9 op_sel_hi:[0,1]
	v_pk_fma_f16 v12, v6, v9, v7 op_sel:[1,0,0] neg_lo:[1,0,0] neg_hi:[1,0,0]
	v_pk_fma_f16 v6, v6, v9, v7 op_sel:[1,0,0] neg_lo:[0,0,1] neg_hi:[0,0,1]
	v_pk_add_f16 v7, v10, v11 op_sel:[0,1] op_sel_hi:[1,0]
	v_pk_add_f16 v9, v10, v11 op_sel:[0,1] op_sel_hi:[1,0] neg_lo:[0,1] neg_hi:[0,1]
	v_pk_add_f16 v10, v12, v11 op_sel:[0,1] op_sel_hi:[1,0] neg_lo:[0,1] neg_hi:[0,1]
	;; [unrolled: 1-line block ×3, first 2 shown]
	v_bfi_b32 v7, s6, v7, v9
	v_bfi_b32 v6, s6, v10, v6
	ds_write_b32 v24, v7 offset:2040
	ds_write_b32 v8, v6 offset:2448
.LBB0_25:
	s_or_b64 exec, exec, s[4:5]
	s_waitcnt lgkmcnt(0)
	s_barrier
	s_and_saveexec_b64 s[0:1], vcc
	s_cbranch_execz .LBB0_28
; %bb.26:
	v_mul_lo_u32 v6, s3, v3
	v_mul_lo_u32 v7, s2, v4
	v_mad_u64_u32 v[3:4], s[0:1], s2, v3, 0
	v_mov_b32_e32 v9, s11
	v_lshl_add_u32 v0, v5, 2, v0
	v_add3_u32 v4, v4, v7, v6
	v_lshlrev_b64 v[3:4], 2, v[3:4]
	v_mov_b32_e32 v6, 0
	v_add_co_u32_e32 v10, vcc, s10, v3
	v_lshlrev_b64 v[2:3], 2, v[1:2]
	v_addc_co_u32_e32 v4, vcc, v9, v4, vcc
	ds_read2_b32 v[7:8], v0 offset1:102
	v_add_co_u32_e32 v2, vcc, v10, v2
	v_addc_co_u32_e32 v1, vcc, v4, v3, vcc
	v_lshlrev_b64 v[3:4], 2, v[5:6]
	s_movk_i32 s0, 0x65
	v_add_co_u32_e32 v3, vcc, v2, v3
	v_addc_co_u32_e32 v4, vcc, v1, v4, vcc
	s_waitcnt lgkmcnt(0)
	global_store_dword v[3:4], v7, off
	v_add_u32_e32 v3, 0x66, v5
	v_mov_b32_e32 v4, v6
	v_lshlrev_b64 v[3:4], 2, v[3:4]
	v_add_u32_e32 v7, 0x200, v0
	v_add_co_u32_e32 v3, vcc, v2, v3
	v_addc_co_u32_e32 v4, vcc, v1, v4, vcc
	global_store_dword v[3:4], v8, off
	v_add_u32_e32 v3, 0xcc, v5
	v_mov_b32_e32 v4, v6
	ds_read2_b32 v[7:8], v7 offset0:76 offset1:178
	v_lshlrev_b64 v[3:4], 2, v[3:4]
	v_add_co_u32_e32 v3, vcc, v2, v3
	v_addc_co_u32_e32 v4, vcc, v1, v4, vcc
	s_waitcnt lgkmcnt(0)
	global_store_dword v[3:4], v7, off
	v_add_u32_e32 v3, 0x132, v5
	v_mov_b32_e32 v4, v6
	v_lshlrev_b64 v[3:4], 2, v[3:4]
	v_add_u32_e32 v7, 0x400, v0
	v_add_co_u32_e32 v3, vcc, v2, v3
	v_addc_co_u32_e32 v4, vcc, v1, v4, vcc
	global_store_dword v[3:4], v8, off
	v_add_u32_e32 v3, 0x198, v5
	v_mov_b32_e32 v4, v6
	ds_read2_b32 v[7:8], v7 offset0:152 offset1:254
	v_lshlrev_b64 v[3:4], 2, v[3:4]
	;; [unrolled: 15-line block ×4, first 2 shown]
	v_add_co_u32_e32 v3, vcc, v2, v3
	v_addc_co_u32_e32 v4, vcc, v1, v4, vcc
	s_waitcnt lgkmcnt(0)
	global_store_dword v[3:4], v7, off
	v_add_u32_e32 v3, 0x396, v5
	v_mov_b32_e32 v4, v6
	v_lshlrev_b64 v[3:4], 2, v[3:4]
	v_add_co_u32_e32 v3, vcc, v2, v3
	v_addc_co_u32_e32 v4, vcc, v1, v4, vcc
	global_store_dword v[3:4], v8, off
	v_add_u32_e32 v3, 0x3fc, v5
	v_mov_b32_e32 v4, v6
	ds_read_b32 v6, v0 offset:4080
	v_lshlrev_b64 v[3:4], 2, v[3:4]
	v_add_co_u32_e32 v3, vcc, v2, v3
	v_addc_co_u32_e32 v4, vcc, v1, v4, vcc
	v_cmp_eq_u32_e32 vcc, s0, v5
	s_waitcnt lgkmcnt(0)
	global_store_dword v[3:4], v6, off
	s_and_b64 exec, exec, vcc
	s_cbranch_execz .LBB0_28
; %bb.27:
	ds_read_b32 v3, v0 offset:4084
	v_add_co_u32_e32 v0, vcc, 0x1000, v2
	v_addc_co_u32_e32 v1, vcc, 0, v1, vcc
	s_waitcnt lgkmcnt(0)
	global_store_dword v[0:1], v3, off offset:392
.LBB0_28:
	s_endpgm
	.section	.rodata,"a",@progbits
	.p2align	6, 0x0
	.amdhsa_kernel fft_rtc_fwd_len1122_factors_17_11_6_wgs_204_tpt_102_halfLds_half_op_CI_CI_unitstride_sbrr_R2C_dirReg
		.amdhsa_group_segment_fixed_size 0
		.amdhsa_private_segment_fixed_size 0
		.amdhsa_kernarg_size 104
		.amdhsa_user_sgpr_count 6
		.amdhsa_user_sgpr_private_segment_buffer 1
		.amdhsa_user_sgpr_dispatch_ptr 0
		.amdhsa_user_sgpr_queue_ptr 0
		.amdhsa_user_sgpr_kernarg_segment_ptr 1
		.amdhsa_user_sgpr_dispatch_id 0
		.amdhsa_user_sgpr_flat_scratch_init 0
		.amdhsa_user_sgpr_private_segment_size 0
		.amdhsa_uses_dynamic_stack 0
		.amdhsa_system_sgpr_private_segment_wavefront_offset 0
		.amdhsa_system_sgpr_workgroup_id_x 1
		.amdhsa_system_sgpr_workgroup_id_y 0
		.amdhsa_system_sgpr_workgroup_id_z 0
		.amdhsa_system_sgpr_workgroup_info 0
		.amdhsa_system_vgpr_workitem_id 0
		.amdhsa_next_free_vgpr 150
		.amdhsa_next_free_sgpr 34
		.amdhsa_reserve_vcc 1
		.amdhsa_reserve_flat_scratch 0
		.amdhsa_float_round_mode_32 0
		.amdhsa_float_round_mode_16_64 0
		.amdhsa_float_denorm_mode_32 3
		.amdhsa_float_denorm_mode_16_64 3
		.amdhsa_dx10_clamp 1
		.amdhsa_ieee_mode 1
		.amdhsa_fp16_overflow 0
		.amdhsa_exception_fp_ieee_invalid_op 0
		.amdhsa_exception_fp_denorm_src 0
		.amdhsa_exception_fp_ieee_div_zero 0
		.amdhsa_exception_fp_ieee_overflow 0
		.amdhsa_exception_fp_ieee_underflow 0
		.amdhsa_exception_fp_ieee_inexact 0
		.amdhsa_exception_int_div_zero 0
	.end_amdhsa_kernel
	.text
.Lfunc_end0:
	.size	fft_rtc_fwd_len1122_factors_17_11_6_wgs_204_tpt_102_halfLds_half_op_CI_CI_unitstride_sbrr_R2C_dirReg, .Lfunc_end0-fft_rtc_fwd_len1122_factors_17_11_6_wgs_204_tpt_102_halfLds_half_op_CI_CI_unitstride_sbrr_R2C_dirReg
                                        ; -- End function
	.section	.AMDGPU.csdata,"",@progbits
; Kernel info:
; codeLenInByte = 12140
; NumSgprs: 38
; NumVgprs: 150
; ScratchSize: 0
; MemoryBound: 0
; FloatMode: 240
; IeeeMode: 1
; LDSByteSize: 0 bytes/workgroup (compile time only)
; SGPRBlocks: 4
; VGPRBlocks: 37
; NumSGPRsForWavesPerEU: 38
; NumVGPRsForWavesPerEU: 150
; Occupancy: 1
; WaveLimiterHint : 1
; COMPUTE_PGM_RSRC2:SCRATCH_EN: 0
; COMPUTE_PGM_RSRC2:USER_SGPR: 6
; COMPUTE_PGM_RSRC2:TRAP_HANDLER: 0
; COMPUTE_PGM_RSRC2:TGID_X_EN: 1
; COMPUTE_PGM_RSRC2:TGID_Y_EN: 0
; COMPUTE_PGM_RSRC2:TGID_Z_EN: 0
; COMPUTE_PGM_RSRC2:TIDIG_COMP_CNT: 0
	.type	__hip_cuid_8f86c0e5a4ff670e,@object ; @__hip_cuid_8f86c0e5a4ff670e
	.section	.bss,"aw",@nobits
	.globl	__hip_cuid_8f86c0e5a4ff670e
__hip_cuid_8f86c0e5a4ff670e:
	.byte	0                               ; 0x0
	.size	__hip_cuid_8f86c0e5a4ff670e, 1

	.ident	"AMD clang version 19.0.0git (https://github.com/RadeonOpenCompute/llvm-project roc-6.4.0 25133 c7fe45cf4b819c5991fe208aaa96edf142730f1d)"
	.section	".note.GNU-stack","",@progbits
	.addrsig
	.addrsig_sym __hip_cuid_8f86c0e5a4ff670e
	.amdgpu_metadata
---
amdhsa.kernels:
  - .args:
      - .actual_access:  read_only
        .address_space:  global
        .offset:         0
        .size:           8
        .value_kind:     global_buffer
      - .offset:         8
        .size:           8
        .value_kind:     by_value
      - .actual_access:  read_only
        .address_space:  global
        .offset:         16
        .size:           8
        .value_kind:     global_buffer
      - .actual_access:  read_only
        .address_space:  global
        .offset:         24
        .size:           8
        .value_kind:     global_buffer
      - .actual_access:  read_only
        .address_space:  global
        .offset:         32
        .size:           8
        .value_kind:     global_buffer
      - .offset:         40
        .size:           8
        .value_kind:     by_value
      - .actual_access:  read_only
        .address_space:  global
        .offset:         48
        .size:           8
        .value_kind:     global_buffer
      - .actual_access:  read_only
        .address_space:  global
        .offset:         56
        .size:           8
        .value_kind:     global_buffer
      - .offset:         64
        .size:           4
        .value_kind:     by_value
      - .actual_access:  read_only
        .address_space:  global
        .offset:         72
        .size:           8
        .value_kind:     global_buffer
      - .actual_access:  read_only
        .address_space:  global
        .offset:         80
        .size:           8
        .value_kind:     global_buffer
      - .actual_access:  read_only
        .address_space:  global
        .offset:         88
        .size:           8
        .value_kind:     global_buffer
      - .actual_access:  write_only
        .address_space:  global
        .offset:         96
        .size:           8
        .value_kind:     global_buffer
    .group_segment_fixed_size: 0
    .kernarg_segment_align: 8
    .kernarg_segment_size: 104
    .language:       OpenCL C
    .language_version:
      - 2
      - 0
    .max_flat_workgroup_size: 204
    .name:           fft_rtc_fwd_len1122_factors_17_11_6_wgs_204_tpt_102_halfLds_half_op_CI_CI_unitstride_sbrr_R2C_dirReg
    .private_segment_fixed_size: 0
    .sgpr_count:     38
    .sgpr_spill_count: 0
    .symbol:         fft_rtc_fwd_len1122_factors_17_11_6_wgs_204_tpt_102_halfLds_half_op_CI_CI_unitstride_sbrr_R2C_dirReg.kd
    .uniform_work_group_size: 1
    .uses_dynamic_stack: false
    .vgpr_count:     150
    .vgpr_spill_count: 0
    .wavefront_size: 64
amdhsa.target:   amdgcn-amd-amdhsa--gfx906
amdhsa.version:
  - 1
  - 2
...

	.end_amdgpu_metadata
